;; amdgpu-corpus repo=ROCm/rocFFT kind=compiled arch=gfx1100 opt=O3
	.text
	.amdgcn_target "amdgcn-amd-amdhsa--gfx1100"
	.amdhsa_code_object_version 6
	.protected	bluestein_single_back_len289_dim1_dp_op_CI_CI ; -- Begin function bluestein_single_back_len289_dim1_dp_op_CI_CI
	.globl	bluestein_single_back_len289_dim1_dp_op_CI_CI
	.p2align	8
	.type	bluestein_single_back_len289_dim1_dp_op_CI_CI,@function
bluestein_single_back_len289_dim1_dp_op_CI_CI: ; @bluestein_single_back_len289_dim1_dp_op_CI_CI
; %bb.0:
	s_load_b128 s[16:19], s[0:1], 0x28
	v_mul_u32_u24_e32 v1, 0xf10, v0
	s_mov_b32 s2, exec_lo
	s_delay_alu instid0(VALU_DEP_1) | instskip(NEXT) | instid1(VALU_DEP_1)
	v_lshrrev_b32_e32 v1, 16, v1
	v_mad_u64_u32 v[247:248], null, s15, 7, v[1:2]
	v_mov_b32_e32 v248, 0
	s_waitcnt lgkmcnt(0)
	s_delay_alu instid0(VALU_DEP_1)
	v_cmpx_gt_u64_e64 s[16:17], v[247:248]
	s_cbranch_execz .LBB0_2
; %bb.1:
	s_clause 0x1
	s_load_b128 s[4:7], s[0:1], 0x18
	s_load_b128 s[8:11], s[0:1], 0x0
	v_mul_lo_u16 v1, v1, 17
	s_mov_b32 s36, 0x5d8e7cdc
	s_mov_b32 s34, 0x2a9d6da3
	;; [unrolled: 1-line block ×4, first 2 shown]
	v_sub_nc_u16 v64, v0, v1
	s_mov_b32 s16, 0x4363dd80
	s_mov_b32 s38, 0xacd6c6b4
	;; [unrolled: 1-line block ×4, first 2 shown]
	v_and_b32_e32 v7, 0xffff, v64
	s_mov_b32 s29, 0xbfeca52d
	s_mov_b32 s21, 0xbfefdd0d
	;; [unrolled: 1-line block ×4, first 2 shown]
	v_mov_b32_e32 v181, v7
	s_mov_b32 s26, 0x370991
	s_mov_b32 s22, 0x75d4884
	s_waitcnt lgkmcnt(0)
	s_load_b128 s[12:15], s[4:5], 0x0
	s_mov_b32 s24, 0x6ed5f1bb
	scratch_store_b32 off, v181, off offset:256 ; 4-byte Folded Spill
	s_mov_b32 s30, 0x910ea3b9
	s_mov_b32 s40, 0x7faef3
	;; [unrolled: 1-line block ×17, first 2 shown]
	s_waitcnt lgkmcnt(0)
	v_mad_u64_u32 v[0:1], null, s14, v247, 0
	v_mad_u64_u32 v[2:3], null, s12, v7, 0
	s_mul_i32 s2, s13, 0x110
	s_mul_hi_u32 s4, s12, 0x110
	s_mul_i32 s3, s12, 0x110
	s_add_i32 s2, s4, s2
	s_mov_b32 s50, s34
	s_mov_b32 s55, 0x3fe9895b
	s_delay_alu instid0(VALU_DEP_1)
	v_mad_u64_u32 v[4:5], null, s15, v247, v[1:2]
	s_mov_b32 s14, 0xc61f0d01
	s_mov_b32 s15, 0xbfd183b1
	;; [unrolled: 1-line block ×4, first 2 shown]
	s_load_b64 s[0:1], s[0:1], 0x38
	s_delay_alu instid0(VALU_DEP_1) | instskip(SKIP_3) | instid1(VALU_DEP_2)
	v_mov_b32_e32 v1, v4
	v_mad_u64_u32 v[5:6], null, s13, v7, v[3:4]
	s_mov_b32 s12, 0x3259b75e
	s_mov_b32 s13, 0x3fb79ee6
	v_lshlrev_b64 v[0:1], 4, v[0:1]
	s_delay_alu instid0(VALU_DEP_1) | instskip(NEXT) | instid1(VALU_DEP_3)
	v_add_co_u32 v4, vcc_lo, s18, v0
	v_dual_mov_b32 v3, v5 :: v_dual_lshlrev_b32 v0, 4, v7
	s_delay_alu instid0(VALU_DEP_3) | instskip(SKIP_2) | instid1(VALU_DEP_2)
	v_add_co_ci_u32_e32 v1, vcc_lo, s19, v1, vcc_lo
	s_mov_b32 s18, 0x2b2883cd
	s_mov_b32 s19, 0x3fdc86fa
	v_lshlrev_b64 v[2:3], 4, v[2:3]
	s_delay_alu instid0(VALU_DEP_1) | instskip(NEXT) | instid1(VALU_DEP_2)
	v_add_co_u32 v5, vcc_lo, v4, v2
	v_add_co_ci_u32_e32 v6, vcc_lo, v1, v3, vcc_lo
	global_load_b128 v[243:246], v0, s[8:9]
	global_load_b128 v[1:4], v[5:6], off
	v_add_co_u32 v9, vcc_lo, v5, s3
	v_add_co_ci_u32_e32 v10, vcc_lo, s2, v6, vcc_lo
	global_load_b128 v[23:26], v0, s[8:9] offset:272
	global_load_b128 v[5:8], v[9:10], off
	v_add_co_u32 v13, vcc_lo, v9, s3
	v_add_co_ci_u32_e32 v14, vcc_lo, s2, v10, vcc_lo
	s_clause 0x2
	global_load_b128 v[19:22], v0, s[8:9] offset:544
	global_load_b128 v[39:42], v0, s[8:9] offset:3808
	;; [unrolled: 1-line block ×3, first 2 shown]
	global_load_b128 v[9:12], v[13:14], off
	s_clause 0x2
	global_load_b128 v[27:30], v0, s[8:9] offset:2992
	global_load_b128 v[31:34], v0, s[8:9] offset:3264
	global_load_b128 v[35:38], v0, s[8:9] offset:3536
	s_waitcnt vmcnt(9)
	v_mul_f64 v[15:16], v[3:4], v[245:246]
	v_mul_f64 v[17:18], v[1:2], v[245:246]
	s_waitcnt vmcnt(8)
	scratch_store_b128 off, v[23:26], off offset:240 ; 16-byte Folded Spill
	s_waitcnt vmcnt(5)
	scratch_store_b128 off, v[39:42], off offset:64 ; 16-byte Folded Spill
	s_waitcnt vmcnt(4)
	scratch_store_b128 off, v[43:46], off   ; 16-byte Folded Spill
	s_waitcnt vmcnt(2)
	scratch_store_b128 off, v[27:30], off offset:48 ; 16-byte Folded Spill
	s_waitcnt vmcnt(1)
	scratch_store_b128 off, v[31:34], off offset:112 ; 16-byte Folded Spill
	s_waitcnt vmcnt(0)
	scratch_store_b128 off, v[35:38], off offset:144 ; 16-byte Folded Spill
	v_fma_f64 v[68:69], v[1:2], v[243:244], v[15:16]
	v_fma_f64 v[70:71], v[3:4], v[243:244], -v[17:18]
	v_mul_f64 v[1:2], v[7:8], v[25:26]
	v_mul_f64 v[3:4], v[5:6], v[25:26]
	global_load_b128 v[15:18], v0, s[8:9] offset:2176
	scratch_store_b128 off, v[19:22], off offset:176 ; 16-byte Folded Spill
	v_fma_f64 v[72:73], v[5:6], v[23:24], v[1:2]
	v_fma_f64 v[74:75], v[7:8], v[23:24], -v[3:4]
	v_mul_f64 v[1:2], v[11:12], v[21:22]
	v_mul_f64 v[3:4], v[9:10], v[21:22]
	v_add_co_u32 v5, vcc_lo, v13, s3
	v_add_co_ci_u32_e32 v6, vcc_lo, s2, v14, vcc_lo
	global_load_b128 v[23:26], v0, s[8:9] offset:2720
	v_fma_f64 v[76:77], v[9:10], v[19:20], v[1:2]
	v_fma_f64 v[78:79], v[11:12], v[19:20], -v[3:4]
	s_clause 0x1
	global_load_b128 v[11:14], v0, s[8:9] offset:816
	global_load_b128 v[19:22], v0, s[8:9] offset:2448
	global_load_b128 v[1:4], v[5:6], off
	v_add_co_u32 v5, vcc_lo, v5, s3
	v_add_co_ci_u32_e32 v6, vcc_lo, s2, v6, vcc_lo
	s_waitcnt vmcnt(4)
	scratch_store_b128 off, v[15:18], off offset:96 ; 16-byte Folded Spill
	s_waitcnt vmcnt(3)
	scratch_store_b128 off, v[23:26], off offset:16 ; 16-byte Folded Spill
	;; [unrolled: 2-line block ×4, first 2 shown]
	s_waitcnt vmcnt(0)
	v_mul_f64 v[7:8], v[3:4], v[13:14]
	v_mul_f64 v[9:10], v[1:2], v[13:14]
	s_delay_alu instid0(VALU_DEP_2) | instskip(NEXT) | instid1(VALU_DEP_2)
	v_fma_f64 v[80:81], v[1:2], v[11:12], v[7:8]
	v_fma_f64 v[82:83], v[3:4], v[11:12], -v[9:10]
	global_load_b128 v[11:14], v0, s[8:9] offset:1088
	global_load_b128 v[1:4], v[5:6], off
	v_add_co_u32 v5, vcc_lo, v5, s3
	v_add_co_ci_u32_e32 v6, vcc_lo, s2, v6, vcc_lo
	s_waitcnt vmcnt(1)
	scratch_store_b128 off, v[11:14], off offset:208 ; 16-byte Folded Spill
	s_waitcnt vmcnt(0)
	v_mul_f64 v[7:8], v[3:4], v[13:14]
	v_mul_f64 v[9:10], v[1:2], v[13:14]
	s_delay_alu instid0(VALU_DEP_2) | instskip(NEXT) | instid1(VALU_DEP_2)
	v_fma_f64 v[84:85], v[1:2], v[11:12], v[7:8]
	v_fma_f64 v[86:87], v[3:4], v[11:12], -v[9:10]
	global_load_b128 v[11:14], v0, s[8:9] offset:1360
	global_load_b128 v[1:4], v[5:6], off
	v_add_co_u32 v5, vcc_lo, v5, s3
	v_add_co_ci_u32_e32 v6, vcc_lo, s2, v6, vcc_lo
	s_waitcnt vmcnt(1)
	scratch_store_b128 off, v[11:14], off offset:160 ; 16-byte Folded Spill
	s_waitcnt vmcnt(0)
	v_mul_f64 v[7:8], v[3:4], v[13:14]
	v_mul_f64 v[9:10], v[1:2], v[13:14]
	s_delay_alu instid0(VALU_DEP_2) | instskip(NEXT) | instid1(VALU_DEP_2)
	v_fma_f64 v[88:89], v[1:2], v[11:12], v[7:8]
	v_fma_f64 v[90:91], v[3:4], v[11:12], -v[9:10]
	global_load_b128 v[11:14], v0, s[8:9] offset:1632
	global_load_b128 v[1:4], v[5:6], off
	v_add_co_u32 v5, vcc_lo, v5, s3
	v_add_co_ci_u32_e32 v6, vcc_lo, s2, v6, vcc_lo
	s_waitcnt vmcnt(1)
	scratch_store_b128 off, v[11:14], off offset:32 ; 16-byte Folded Spill
	s_waitcnt vmcnt(0)
	v_mul_f64 v[7:8], v[3:4], v[13:14]
	v_mul_f64 v[9:10], v[1:2], v[13:14]
	s_delay_alu instid0(VALU_DEP_2) | instskip(NEXT) | instid1(VALU_DEP_2)
	v_fma_f64 v[92:93], v[1:2], v[11:12], v[7:8]
	v_fma_f64 v[94:95], v[3:4], v[11:12], -v[9:10]
	global_load_b128 v[11:14], v0, s[8:9] offset:1904
	global_load_b128 v[1:4], v[5:6], off
	s_waitcnt vmcnt(1)
	scratch_store_b128 off, v[11:14], off offset:80 ; 16-byte Folded Spill
	s_waitcnt vmcnt(0)
	v_mul_f64 v[9:10], v[1:2], v[13:14]
	v_mul_f64 v[7:8], v[3:4], v[13:14]
	s_delay_alu instid0(VALU_DEP_2) | instskip(SKIP_2) | instid1(VALU_DEP_4)
	v_fma_f64 v[3:4], v[3:4], v[11:12], -v[9:10]
	v_add_co_u32 v9, vcc_lo, v5, s3
	v_add_co_ci_u32_e32 v10, vcc_lo, s2, v6, vcc_lo
	v_fma_f64 v[1:2], v[1:2], v[11:12], v[7:8]
	global_load_b128 v[5:8], v[9:10], off
	s_waitcnt vmcnt(0)
	v_mul_f64 v[13:14], v[5:6], v[17:18]
	v_mul_f64 v[11:12], v[7:8], v[17:18]
	s_delay_alu instid0(VALU_DEP_2) | instskip(SKIP_2) | instid1(VALU_DEP_4)
	v_fma_f64 v[7:8], v[7:8], v[15:16], -v[13:14]
	v_add_co_u32 v13, vcc_lo, v9, s3
	v_add_co_ci_u32_e32 v14, vcc_lo, s2, v10, vcc_lo
	v_fma_f64 v[5:6], v[5:6], v[15:16], v[11:12]
	global_load_b128 v[9:12], v[13:14], off
	;; [unrolled: 9-line block ×8, first 2 shown]
	v_add_co_u32 v37, vcc_lo, v37, s3
	v_add_co_ci_u32_e32 v38, vcc_lo, s2, v38, vcc_lo
	v_add_co_u32 v255, s2, s8, v0
	s_delay_alu instid0(VALU_DEP_1) | instskip(SKIP_3) | instid1(VALU_DEP_2)
	v_add_co_u32 v187, vcc_lo, 0x1000, v255
	s_waitcnt vmcnt(0)
	v_mul_f64 v[39:40], v[35:36], v[45:46]
	v_mul_f64 v[41:42], v[33:34], v[45:46]
	v_fma_f64 v[33:34], v[33:34], v[43:44], v[39:40]
	v_add_co_ci_u32_e64 v39, null, s9, 0, s2
	s_delay_alu instid0(VALU_DEP_3) | instskip(SKIP_2) | instid1(VALU_DEP_2)
	v_fma_f64 v[35:36], v[35:36], v[43:44], -v[41:42]
	s_mov_b32 s2, 0x923c349f
	s_mov_b32 s8, 0x6c9a05f6
	v_add_co_ci_u32_e32 v188, vcc_lo, 0, v39, vcc_lo
	scratch_store_b32 off, v39, off offset:260 ; 4-byte Folded Spill
	global_load_b128 v[37:40], v[37:38], off
	global_load_b128 v[45:48], v[187:188], off offset:256
	s_mov_b32 s3, 0xbfeec746
	s_mov_b32 s9, 0xbfe9895b
	;; [unrolled: 1-line block ×4, first 2 shown]
	s_waitcnt vmcnt(0)
	v_mul_f64 v[41:42], v[39:40], v[47:48]
	v_mul_f64 v[43:44], v[37:38], v[47:48]
	scratch_store_b128 off, v[45:48], off offset:224 ; 16-byte Folded Spill
	v_fma_f64 v[37:38], v[37:38], v[45:46], v[41:42]
	v_mul_hi_u32 v41, 0x24924925, v247
	v_fma_f64 v[39:40], v[39:40], v[45:46], -v[43:44]
	s_delay_alu instid0(VALU_DEP_2) | instskip(NEXT) | instid1(VALU_DEP_1)
	v_sub_nc_u32_e32 v42, v247, v41
	v_lshrrev_b32_e32 v42, 1, v42
	s_delay_alu instid0(VALU_DEP_1) | instskip(NEXT) | instid1(VALU_DEP_1)
	v_add_nc_u32_e32 v41, v42, v41
	v_lshrrev_b32_e32 v41, 2, v41
	s_delay_alu instid0(VALU_DEP_1) | instskip(NEXT) | instid1(VALU_DEP_1)
	v_mul_lo_u32 v41, v41, 7
	v_sub_nc_u32_e32 v41, v247, v41
	s_delay_alu instid0(VALU_DEP_1) | instskip(NEXT) | instid1(VALU_DEP_1)
	v_mul_u32_u24_e32 v41, 0x121, v41
	v_lshlrev_b32_e32 v65, 4, v41
	s_delay_alu instid0(VALU_DEP_1)
	v_add_nc_u32_e32 v180, v0, v65
	ds_store_b128 v180, v[68:71]
	ds_store_b128 v180, v[72:75] offset:272
	ds_store_b128 v180, v[76:79] offset:544
	;; [unrolled: 1-line block ×16, first 2 shown]
	s_load_b128 s[4:7], s[6:7], 0x0
	s_waitcnt lgkmcnt(0)
	s_waitcnt_vscnt null, 0x0
	s_barrier
	buffer_gl0_inv
	ds_load_b128 v[68:71], v180
	ds_load_b128 v[72:75], v180 offset:272
	ds_load_b128 v[76:79], v180 offset:544
	ds_load_b128 v[80:83], v180 offset:816
	ds_load_b128 v[84:87], v180 offset:1088
	ds_load_b128 v[88:91], v180 offset:1360
	ds_load_b128 v[92:95], v180 offset:1632
	ds_load_b128 v[96:99], v180 offset:1904
	ds_load_b128 v[100:103], v180 offset:2176
	ds_load_b128 v[104:107], v180 offset:2448
	ds_load_b128 v[8:11], v180 offset:2720
	s_waitcnt lgkmcnt(9)
	v_add_f64 v[0:1], v[68:69], v[72:73]
	v_add_f64 v[2:3], v[70:71], v[74:75]
	s_waitcnt lgkmcnt(1)
	v_add_f64 v[118:119], v[100:101], -v[104:105]
	s_waitcnt lgkmcnt(0)
	v_add_f64 v[28:29], v[96:97], -v[8:9]
	v_add_f64 v[30:31], v[98:99], -v[10:11]
	;; [unrolled: 1-line block ×3, first 2 shown]
	v_add_f64 v[0:1], v[0:1], v[76:77]
	v_add_f64 v[2:3], v[2:3], v[78:79]
	v_mul_f64 v[185:186], v[118:119], s[46:47]
	s_delay_alu instid0(VALU_DEP_4) | instskip(NEXT) | instid1(VALU_DEP_4)
	v_mul_f64 v[183:184], v[130:131], s[46:47]
	v_add_f64 v[0:1], v[0:1], v[80:81]
	s_delay_alu instid0(VALU_DEP_4) | instskip(NEXT) | instid1(VALU_DEP_2)
	v_add_f64 v[2:3], v[2:3], v[82:83]
	v_add_f64 v[0:1], v[0:1], v[84:85]
	s_delay_alu instid0(VALU_DEP_2) | instskip(NEXT) | instid1(VALU_DEP_2)
	v_add_f64 v[2:3], v[2:3], v[86:87]
	v_add_f64 v[0:1], v[0:1], v[88:89]
	s_delay_alu instid0(VALU_DEP_2) | instskip(NEXT) | instid1(VALU_DEP_2)
	;; [unrolled: 3-line block ×4, first 2 shown]
	v_add_f64 v[2:3], v[2:3], v[98:99]
	v_add_f64 v[4:5], v[0:1], v[100:101]
	s_delay_alu instid0(VALU_DEP_2) | instskip(SKIP_2) | instid1(VALU_DEP_4)
	v_add_f64 v[6:7], v[2:3], v[102:103]
	v_add_f64 v[0:1], v[100:101], v[104:105]
	;; [unrolled: 1-line block ×4, first 2 shown]
	s_delay_alu instid0(VALU_DEP_4) | instskip(SKIP_2) | instid1(VALU_DEP_4)
	v_add_f64 v[14:15], v[6:7], v[106:107]
	v_add_f64 v[4:5], v[96:97], v[8:9]
	;; [unrolled: 1-line block ×4, first 2 shown]
	s_delay_alu instid0(VALU_DEP_4)
	v_add_f64 v[18:19], v[14:15], v[10:11]
	ds_load_b128 v[12:15], v180 offset:2992
	s_waitcnt lgkmcnt(0)
	v_add_f64 v[8:9], v[92:93], v[12:13]
	v_add_f64 v[10:11], v[94:95], v[14:15]
	v_add_f64 v[132:133], v[92:93], -v[12:13]
	v_add_f64 v[134:135], v[94:95], -v[14:15]
	v_add_f64 v[20:21], v[16:17], v[12:13]
	v_add_f64 v[22:23], v[18:19], v[14:15]
	ds_load_b128 v[16:19], v180 offset:3264
	s_waitcnt lgkmcnt(0)
	v_add_f64 v[12:13], v[88:89], v[16:17]
	v_add_f64 v[14:15], v[90:91], v[18:19]
	v_add_f64 v[136:137], v[88:89], -v[16:17]
	v_add_f64 v[138:139], v[90:91], -v[18:19]
	v_add_f64 v[24:25], v[20:21], v[16:17]
	;; [unrolled: 8-line block ×5, first 2 shown]
	v_add_f64 v[38:39], v[38:39], v[26:27]
	ds_load_b128 v[24:27], v180 offset:4352
	s_waitcnt lgkmcnt(0)
	s_barrier
	buffer_gl0_inv
	v_add_f64 v[40:41], v[74:75], -v[26:27]
	v_add_f64 v[42:43], v[72:73], v[24:25]
	v_add_f64 v[44:45], v[74:75], v[26:27]
	v_add_f64 v[46:47], v[72:73], -v[24:25]
	v_add_f64 v[72:73], v[36:37], v[24:25]
	v_add_f64 v[74:75], v[38:39], v[26:27]
	v_mul_f64 v[24:25], v[40:41], s[36:37]
	v_mul_f64 v[26:27], v[40:41], s[34:35]
	;; [unrolled: 1-line block ×11, first 2 shown]
	v_fma_f64 v[54:55], v[42:43], s[26:27], -v[24:25]
	v_fma_f64 v[24:25], v[42:43], s[26:27], v[24:25]
	v_fma_f64 v[56:57], v[42:43], s[22:23], -v[26:27]
	v_fma_f64 v[58:59], v[42:43], s[22:23], v[26:27]
	;; [unrolled: 2-line block ×8, first 2 shown]
	v_mul_f64 v[26:27], v[46:47], s[36:37]
	v_mul_f64 v[40:41], v[46:47], s[34:35]
	;; [unrolled: 1-line block ×5, first 2 shown]
	v_fma_f64 v[112:113], v[44:45], s[14:15], v[62:63]
	v_fma_f64 v[114:115], v[44:45], s[14:15], -v[62:63]
	v_fma_f64 v[116:117], v[44:45], s[24:25], v[76:77]
	v_fma_f64 v[120:121], v[44:45], s[24:25], -v[76:77]
	v_fma_f64 v[122:123], v[44:45], s[30:31], v[78:79]
	v_fma_f64 v[124:125], v[44:45], s[30:31], -v[78:79]
	v_add_f64 v[156:157], v[68:69], v[54:55]
	v_add_f64 v[24:25], v[68:69], v[24:25]
	;; [unrolled: 1-line block ×11, first 2 shown]
	v_mul_f64 v[108:109], v[34:35], s[28:29]
	v_fma_f64 v[80:81], v[44:45], s[26:27], v[26:27]
	v_fma_f64 v[26:27], v[44:45], s[26:27], -v[26:27]
	v_fma_f64 v[88:89], v[44:45], s[18:19], v[42:43]
	v_fma_f64 v[42:43], v[44:45], s[18:19], -v[42:43]
	;; [unrolled: 2-line block ×3, first 2 shown]
	v_add_f64 v[46:47], v[68:69], v[104:105]
	v_mul_f64 v[104:105], v[146:147], s[34:35]
	v_fma_f64 v[82:83], v[44:45], s[22:23], v[40:41]
	v_fma_f64 v[40:41], v[44:45], s[22:23], -v[40:41]
	v_fma_f64 v[92:93], v[44:45], s[12:13], v[52:53]
	v_fma_f64 v[52:53], v[44:45], s[12:13], -v[52:53]
	v_add_f64 v[56:57], v[70:71], v[112:113]
	v_add_f64 v[152:153], v[70:71], v[114:115]
	;; [unrolled: 1-line block ×5, first 2 shown]
	v_mul_f64 v[110:111], v[32:33], s[28:29]
	v_mul_f64 v[112:113], v[142:143], s[20:21]
	;; [unrolled: 1-line block ×5, first 2 shown]
	v_add_f64 v[158:159], v[70:71], v[80:81]
	v_add_f64 v[26:27], v[70:71], v[26:27]
	;; [unrolled: 1-line block ×5, first 2 shown]
	v_mul_f64 v[106:107], v[144:145], s[34:35]
	v_add_f64 v[36:37], v[70:71], v[126:127]
	v_fma_f64 v[66:67], v[100:101], s[22:23], -v[104:105]
	v_add_f64 v[76:77], v[70:71], v[82:83]
	v_add_f64 v[82:83], v[68:69], v[58:59]
	;; [unrolled: 1-line block ×9, first 2 shown]
	v_fma_f64 v[70:71], v[20:21], s[18:19], -v[108:109]
	v_mul_f64 v[116:117], v[138:139], s[2:3]
	v_mul_f64 v[124:125], v[132:133], s[8:9]
	;; [unrolled: 1-line block ×4, first 2 shown]
	v_fma_f64 v[68:69], v[102:103], s[22:23], v[106:107]
	v_add_f64 v[66:67], v[66:67], v[156:157]
	v_mul_f64 v[156:157], v[130:131], s[38:39]
	s_delay_alu instid0(VALU_DEP_3) | instskip(SKIP_1) | instid1(VALU_DEP_4)
	v_add_f64 v[68:69], v[68:69], v[158:159]
	v_mul_f64 v[158:159], v[118:119], s[38:39]
	v_add_f64 v[66:67], v[70:71], v[66:67]
	v_fma_f64 v[70:71], v[22:23], s[18:19], v[110:111]
	s_delay_alu instid0(VALU_DEP_1) | instskip(SKIP_1) | instid1(VALU_DEP_1)
	v_add_f64 v[68:69], v[70:71], v[68:69]
	v_fma_f64 v[70:71], v[16:17], s[12:13], -v[112:113]
	v_add_f64 v[66:67], v[70:71], v[66:67]
	v_fma_f64 v[70:71], v[18:19], s[12:13], v[114:115]
	s_delay_alu instid0(VALU_DEP_1) | instskip(SKIP_1) | instid1(VALU_DEP_1)
	v_add_f64 v[68:69], v[70:71], v[68:69]
	v_fma_f64 v[70:71], v[12:13], s[14:15], -v[116:117]
	v_add_f64 v[66:67], v[70:71], v[66:67]
	v_fma_f64 v[70:71], v[14:15], s[14:15], v[120:121]
	s_delay_alu instid0(VALU_DEP_1) | instskip(SKIP_1) | instid1(VALU_DEP_1)
	v_add_f64 v[68:69], v[70:71], v[68:69]
	v_fma_f64 v[70:71], v[8:9], s[24:25], -v[122:123]
	v_add_f64 v[66:67], v[70:71], v[66:67]
	v_fma_f64 v[70:71], v[10:11], s[24:25], v[124:125]
	s_delay_alu instid0(VALU_DEP_1) | instskip(SKIP_1) | instid1(VALU_DEP_1)
	v_add_f64 v[68:69], v[70:71], v[68:69]
	v_fma_f64 v[70:71], v[4:5], s[30:31], -v[126:127]
	v_add_f64 v[66:67], v[70:71], v[66:67]
	v_fma_f64 v[70:71], v[6:7], s[30:31], v[128:129]
	s_delay_alu instid0(VALU_DEP_1) | instskip(SKIP_1) | instid1(VALU_DEP_1)
	v_add_f64 v[70:71], v[70:71], v[68:69]
	v_fma_f64 v[68:69], v[0:1], s[40:41], -v[156:157]
	v_add_f64 v[68:69], v[68:69], v[66:67]
	v_fma_f64 v[66:67], v[2:3], s[40:41], v[158:159]
	s_delay_alu instid0(VALU_DEP_1) | instskip(SKIP_1) | instid1(VALU_DEP_1)
	v_add_f64 v[70:71], v[66:67], v[70:71]
	v_mul_f64 v[66:67], v[146:147], s[20:21]
	v_fma_f64 v[84:85], v[100:101], s[12:13], -v[66:67]
	v_fma_f64 v[66:67], v[100:101], s[12:13], v[66:67]
	s_delay_alu instid0(VALU_DEP_2) | instskip(SKIP_1) | instid1(VALU_DEP_3)
	v_add_f64 v[78:79], v[84:85], v[78:79]
	v_mul_f64 v[84:85], v[144:145], s[20:21]
	v_add_f64 v[66:67], v[66:67], v[82:83]
	s_delay_alu instid0(VALU_DEP_2) | instskip(SKIP_2) | instid1(VALU_DEP_3)
	v_fma_f64 v[86:87], v[102:103], s[12:13], v[84:85]
	v_fma_f64 v[82:83], v[102:103], s[12:13], -v[84:85]
	v_fma_f64 v[84:85], v[2:3], s[26:27], -v[185:186]
	v_add_f64 v[76:77], v[86:87], v[76:77]
	v_mul_f64 v[86:87], v[34:35], s[8:9]
	s_delay_alu instid0(VALU_DEP_4) | instskip(NEXT) | instid1(VALU_DEP_2)
	v_add_f64 v[80:81], v[82:83], v[80:81]
	v_fma_f64 v[160:161], v[20:21], s[24:25], -v[86:87]
	v_fma_f64 v[82:83], v[20:21], s[24:25], v[86:87]
	s_delay_alu instid0(VALU_DEP_2) | instskip(SKIP_1) | instid1(VALU_DEP_3)
	v_add_f64 v[78:79], v[160:161], v[78:79]
	v_mul_f64 v[160:161], v[32:33], s[8:9]
	v_add_f64 v[66:67], v[82:83], v[66:67]
	s_delay_alu instid0(VALU_DEP_2) | instskip(SKIP_2) | instid1(VALU_DEP_3)
	v_fma_f64 v[162:163], v[22:23], s[24:25], v[160:161]
	v_fma_f64 v[82:83], v[22:23], s[24:25], -v[160:161]
	v_mul_f64 v[160:161], v[144:145], s[8:9]
	v_add_f64 v[76:77], v[162:163], v[76:77]
	v_mul_f64 v[162:163], v[142:143], s[38:39]
	s_delay_alu instid0(VALU_DEP_4) | instskip(NEXT) | instid1(VALU_DEP_2)
	v_add_f64 v[80:81], v[82:83], v[80:81]
	v_fma_f64 v[164:165], v[16:17], s[40:41], -v[162:163]
	v_fma_f64 v[82:83], v[16:17], s[40:41], v[162:163]
	v_mul_f64 v[162:163], v[34:35], s[52:53]
	s_delay_alu instid0(VALU_DEP_3) | instskip(SKIP_1) | instid1(VALU_DEP_4)
	v_add_f64 v[78:79], v[164:165], v[78:79]
	v_mul_f64 v[164:165], v[140:141], s[38:39]
	v_add_f64 v[66:67], v[82:83], v[66:67]
	s_delay_alu instid0(VALU_DEP_2) | instskip(SKIP_2) | instid1(VALU_DEP_3)
	v_fma_f64 v[166:167], v[18:19], s[40:41], v[164:165]
	v_fma_f64 v[82:83], v[18:19], s[40:41], -v[164:165]
	v_mul_f64 v[164:165], v[32:33], s[52:53]
	v_add_f64 v[76:77], v[166:167], v[76:77]
	v_mul_f64 v[166:167], v[138:139], s[48:49]
	s_delay_alu instid0(VALU_DEP_4) | instskip(NEXT) | instid1(VALU_DEP_2)
	v_add_f64 v[80:81], v[82:83], v[80:81]
	v_fma_f64 v[168:169], v[12:13], s[30:31], -v[166:167]
	v_fma_f64 v[82:83], v[12:13], s[30:31], v[166:167]
	v_mul_f64 v[166:167], v[142:143], s[44:45]
	s_delay_alu instid0(VALU_DEP_3) | instskip(SKIP_1) | instid1(VALU_DEP_4)
	;; [unrolled: 15-line block ×4, first 2 shown]
	v_add_f64 v[78:79], v[176:177], v[78:79]
	v_mul_f64 v[176:177], v[28:29], s[42:43]
	v_add_f64 v[66:67], v[82:83], v[66:67]
	s_delay_alu instid0(VALU_DEP_2) | instskip(SKIP_2) | instid1(VALU_DEP_3)
	v_fma_f64 v[82:83], v[6:7], s[18:19], -v[176:177]
	v_fma_f64 v[178:179], v[6:7], s[18:19], v[176:177]
	v_mul_f64 v[176:177], v[132:133], s[36:37]
	v_add_f64 v[82:83], v[82:83], v[80:81]
	v_fma_f64 v[80:81], v[0:1], s[26:27], v[183:184]
	s_delay_alu instid0(VALU_DEP_4)
	v_add_f64 v[178:179], v[178:179], v[76:77]
	v_fma_f64 v[76:77], v[0:1], s[26:27], -v[183:184]
	v_mul_f64 v[183:184], v[28:29], s[20:21]
	v_add_f64 v[82:83], v[84:85], v[82:83]
	v_add_f64 v[80:81], v[80:81], v[66:67]
	v_mul_f64 v[66:67], v[146:147], s[8:9]
	v_add_f64 v[76:77], v[76:77], v[78:79]
	v_fma_f64 v[78:79], v[2:3], s[26:27], v[185:186]
	v_mul_f64 v[185:186], v[130:131], s[16:17]
	s_delay_alu instid0(VALU_DEP_4) | instskip(NEXT) | instid1(VALU_DEP_3)
	v_fma_f64 v[84:85], v[100:101], s[24:25], -v[66:67]
	v_add_f64 v[78:79], v[78:79], v[178:179]
	v_mul_f64 v[178:179], v[30:31], s[20:21]
	s_delay_alu instid0(VALU_DEP_3) | instskip(SKIP_1) | instid1(VALU_DEP_1)
	v_add_f64 v[62:63], v[84:85], v[62:63]
	v_fma_f64 v[84:85], v[102:103], s[24:25], v[160:161]
	v_add_f64 v[60:61], v[84:85], v[60:61]
	v_fma_f64 v[84:85], v[20:21], s[40:41], -v[162:163]
	s_delay_alu instid0(VALU_DEP_1) | instskip(SKIP_1) | instid1(VALU_DEP_1)
	v_add_f64 v[62:63], v[84:85], v[62:63]
	v_fma_f64 v[84:85], v[22:23], s[40:41], v[164:165]
	v_add_f64 v[60:61], v[84:85], v[60:61]
	v_fma_f64 v[84:85], v[16:17], s[14:15], -v[166:167]
	s_delay_alu instid0(VALU_DEP_1) | instskip(SKIP_1) | instid1(VALU_DEP_1)
	;; [unrolled: 5-line block ×6, first 2 shown]
	v_add_f64 v[84:85], v[84:85], v[62:63]
	v_mul_f64 v[62:63], v[118:119], s[16:17]
	v_fma_f64 v[86:87], v[2:3], s[30:31], v[62:63]
	v_fma_f64 v[62:63], v[2:3], s[30:31], -v[62:63]
	s_delay_alu instid0(VALU_DEP_2) | instskip(SKIP_3) | instid1(VALU_DEP_3)
	v_add_f64 v[86:87], v[86:87], v[60:61]
	v_fma_f64 v[60:61], v[100:101], s[24:25], v[66:67]
	v_fma_f64 v[66:67], v[102:103], s[24:25], -v[160:161]
	v_mul_f64 v[160:161], v[34:35], s[44:45]
	v_add_f64 v[60:61], v[60:61], v[90:91]
	s_delay_alu instid0(VALU_DEP_3) | instskip(SKIP_2) | instid1(VALU_DEP_2)
	v_add_f64 v[66:67], v[66:67], v[88:89]
	v_fma_f64 v[88:89], v[20:21], s[40:41], v[162:163]
	v_mul_f64 v[162:163], v[32:33], s[44:45]
	v_add_f64 v[60:61], v[88:89], v[60:61]
	v_fma_f64 v[88:89], v[22:23], s[40:41], -v[164:165]
	v_mul_f64 v[164:165], v[142:143], s[46:47]
	s_delay_alu instid0(VALU_DEP_2) | instskip(SKIP_2) | instid1(VALU_DEP_2)
	v_add_f64 v[66:67], v[88:89], v[66:67]
	v_fma_f64 v[88:89], v[16:17], s[14:15], v[166:167]
	v_mul_f64 v[166:167], v[140:141], s[46:47]
	v_add_f64 v[60:61], v[88:89], v[60:61]
	v_fma_f64 v[88:89], v[18:19], s[14:15], -v[168:169]
	v_mul_f64 v[168:169], v[138:139], s[28:29]
	s_delay_alu instid0(VALU_DEP_2) | instskip(SKIP_2) | instid1(VALU_DEP_2)
	;; [unrolled: 7-line block ×4, first 2 shown]
	v_add_f64 v[66:67], v[88:89], v[66:67]
	v_fma_f64 v[88:89], v[4:5], s[12:13], v[178:179]
	v_mul_f64 v[178:179], v[28:29], s[54:55]
	v_add_f64 v[60:61], v[88:89], v[60:61]
	v_fma_f64 v[88:89], v[6:7], s[12:13], -v[183:184]
	v_mul_f64 v[183:184], v[130:131], s[50:51]
	s_delay_alu instid0(VALU_DEP_2) | instskip(SKIP_1) | instid1(VALU_DEP_2)
	v_add_f64 v[66:67], v[88:89], v[66:67]
	v_fma_f64 v[88:89], v[0:1], s[30:31], v[185:186]
	v_add_f64 v[90:91], v[62:63], v[66:67]
	s_delay_alu instid0(VALU_DEP_2) | instskip(SKIP_2) | instid1(VALU_DEP_2)
	v_add_f64 v[88:89], v[88:89], v[60:61]
	v_mul_f64 v[60:61], v[146:147], s[38:39]
	v_mul_f64 v[66:67], v[144:145], s[38:39]
	v_fma_f64 v[62:63], v[100:101], s[40:41], -v[60:61]
	v_fma_f64 v[60:61], v[100:101], s[40:41], v[60:61]
	s_delay_alu instid0(VALU_DEP_2) | instskip(NEXT) | instid1(VALU_DEP_4)
	v_add_f64 v[62:63], v[62:63], v[94:95]
	v_fma_f64 v[94:95], v[102:103], s[40:41], v[66:67]
	v_fma_f64 v[66:67], v[102:103], s[40:41], -v[66:67]
	s_delay_alu instid0(VALU_DEP_4) | instskip(NEXT) | instid1(VALU_DEP_3)
	v_add_f64 v[60:61], v[60:61], v[98:99]
	v_add_f64 v[92:93], v[94:95], v[92:93]
	v_fma_f64 v[94:95], v[20:21], s[14:15], -v[160:161]
	s_delay_alu instid0(VALU_DEP_4) | instskip(SKIP_1) | instid1(VALU_DEP_3)
	v_add_f64 v[66:67], v[66:67], v[96:97]
	v_fma_f64 v[96:97], v[20:21], s[14:15], v[160:161]
	v_add_f64 v[62:63], v[94:95], v[62:63]
	v_fma_f64 v[94:95], v[22:23], s[14:15], v[162:163]
	s_delay_alu instid0(VALU_DEP_3) | instskip(SKIP_1) | instid1(VALU_DEP_3)
	v_add_f64 v[60:61], v[96:97], v[60:61]
	v_fma_f64 v[96:97], v[22:23], s[14:15], -v[162:163]
	v_add_f64 v[92:93], v[94:95], v[92:93]
	v_fma_f64 v[94:95], v[16:17], s[26:27], -v[164:165]
	s_delay_alu instid0(VALU_DEP_3) | instskip(SKIP_1) | instid1(VALU_DEP_3)
	v_add_f64 v[66:67], v[96:97], v[66:67]
	v_fma_f64 v[96:97], v[16:17], s[26:27], v[164:165]
	v_add_f64 v[62:63], v[94:95], v[62:63]
	v_fma_f64 v[94:95], v[18:19], s[26:27], v[166:167]
	s_delay_alu instid0(VALU_DEP_3) | instskip(SKIP_1) | instid1(VALU_DEP_3)
	v_add_f64 v[60:61], v[96:97], v[60:61]
	v_fma_f64 v[96:97], v[18:19], s[26:27], -v[166:167]
	v_add_f64 v[92:93], v[94:95], v[92:93]
	v_fma_f64 v[94:95], v[12:13], s[18:19], -v[168:169]
	s_delay_alu instid0(VALU_DEP_3) | instskip(SKIP_1) | instid1(VALU_DEP_3)
	;; [unrolled: 10-line block ×4, first 2 shown]
	v_add_f64 v[66:67], v[96:97], v[66:67]
	v_fma_f64 v[96:97], v[4:5], s[24:25], v[176:177]
	v_add_f64 v[62:63], v[94:95], v[62:63]
	v_fma_f64 v[94:95], v[6:7], s[24:25], v[178:179]
	s_delay_alu instid0(VALU_DEP_3) | instskip(SKIP_1) | instid1(VALU_DEP_3)
	v_add_f64 v[60:61], v[96:97], v[60:61]
	v_fma_f64 v[96:97], v[6:7], s[24:25], -v[178:179]
	v_add_f64 v[94:95], v[94:95], v[92:93]
	v_fma_f64 v[92:93], v[0:1], s[22:23], -v[183:184]
	s_delay_alu instid0(VALU_DEP_3) | instskip(SKIP_2) | instid1(VALU_DEP_4)
	v_add_f64 v[66:67], v[96:97], v[66:67]
	v_fma_f64 v[96:97], v[0:1], s[22:23], v[183:184]
	v_mul_f64 v[183:184], v[130:131], s[8:9]
	v_add_f64 v[92:93], v[92:93], v[62:63]
	v_mul_f64 v[62:63], v[118:119], s[50:51]
	s_delay_alu instid0(VALU_DEP_4) | instskip(SKIP_1) | instid1(VALU_DEP_3)
	v_add_f64 v[96:97], v[96:97], v[60:61]
	v_mul_f64 v[60:61], v[146:147], s[48:49]
	v_fma_f64 v[185:186], v[2:3], s[22:23], v[62:63]
	v_fma_f64 v[62:63], v[2:3], s[22:23], -v[62:63]
	s_delay_alu instid0(VALU_DEP_2) | instskip(NEXT) | instid1(VALU_DEP_2)
	v_add_f64 v[94:95], v[185:186], v[94:95]
	v_add_f64 v[98:99], v[62:63], v[66:67]
	v_fma_f64 v[62:63], v[100:101], s[30:31], -v[60:61]
	v_fma_f64 v[60:61], v[100:101], s[30:31], v[60:61]
	v_mul_f64 v[185:186], v[118:119], s[8:9]
	s_delay_alu instid0(VALU_DEP_3) | instskip(SKIP_1) | instid1(VALU_DEP_4)
	v_add_f64 v[58:59], v[62:63], v[58:59]
	v_mul_f64 v[62:63], v[144:145], s[48:49]
	v_add_f64 v[60:61], v[60:61], v[154:155]
	s_delay_alu instid0(VALU_DEP_2) | instskip(SKIP_1) | instid1(VALU_DEP_2)
	v_fma_f64 v[66:67], v[102:103], s[30:31], v[62:63]
	v_fma_f64 v[62:63], v[102:103], s[30:31], -v[62:63]
	v_add_f64 v[56:57], v[66:67], v[56:57]
	v_mul_f64 v[66:67], v[34:35], s[50:51]
	s_delay_alu instid0(VALU_DEP_3) | instskip(SKIP_1) | instid1(VALU_DEP_3)
	v_add_f64 v[62:63], v[62:63], v[152:153]
	v_fma_f64 v[152:153], v[2:3], s[24:25], -v[185:186]
	v_fma_f64 v[160:161], v[20:21], s[22:23], -v[66:67]
	v_fma_f64 v[66:67], v[20:21], s[22:23], v[66:67]
	s_delay_alu instid0(VALU_DEP_2) | instskip(SKIP_1) | instid1(VALU_DEP_3)
	v_add_f64 v[58:59], v[160:161], v[58:59]
	v_mul_f64 v[160:161], v[32:33], s[50:51]
	v_add_f64 v[60:61], v[66:67], v[60:61]
	s_delay_alu instid0(VALU_DEP_2) | instskip(SKIP_1) | instid1(VALU_DEP_2)
	v_fma_f64 v[162:163], v[22:23], s[22:23], v[160:161]
	v_fma_f64 v[66:67], v[22:23], s[22:23], -v[160:161]
	v_add_f64 v[56:57], v[162:163], v[56:57]
	v_mul_f64 v[162:163], v[142:143], s[28:29]
	s_delay_alu instid0(VALU_DEP_3) | instskip(NEXT) | instid1(VALU_DEP_2)
	v_add_f64 v[62:63], v[66:67], v[62:63]
	v_fma_f64 v[164:165], v[16:17], s[18:19], -v[162:163]
	v_fma_f64 v[66:67], v[16:17], s[18:19], v[162:163]
	s_delay_alu instid0(VALU_DEP_2) | instskip(SKIP_1) | instid1(VALU_DEP_3)
	v_add_f64 v[58:59], v[164:165], v[58:59]
	v_mul_f64 v[164:165], v[140:141], s[28:29]
	v_add_f64 v[60:61], v[66:67], v[60:61]
	s_delay_alu instid0(VALU_DEP_2) | instskip(SKIP_1) | instid1(VALU_DEP_2)
	v_fma_f64 v[166:167], v[18:19], s[18:19], v[164:165]
	v_fma_f64 v[66:67], v[18:19], s[18:19], -v[164:165]
	v_add_f64 v[56:57], v[166:167], v[56:57]
	v_mul_f64 v[166:167], v[138:139], s[38:39]
	s_delay_alu instid0(VALU_DEP_3) | instskip(NEXT) | instid1(VALU_DEP_2)
	v_add_f64 v[62:63], v[66:67], v[62:63]
	v_fma_f64 v[168:169], v[12:13], s[40:41], -v[166:167]
	v_fma_f64 v[66:67], v[12:13], s[40:41], v[166:167]
	s_delay_alu instid0(VALU_DEP_2) | instskip(SKIP_1) | instid1(VALU_DEP_3)
	v_add_f64 v[58:59], v[168:169], v[58:59]
	v_mul_f64 v[168:169], v[136:137], s[38:39]
	v_add_f64 v[60:61], v[66:67], v[60:61]
	s_delay_alu instid0(VALU_DEP_2) | instskip(SKIP_1) | instid1(VALU_DEP_2)
	v_fma_f64 v[170:171], v[14:15], s[40:41], v[168:169]
	v_fma_f64 v[66:67], v[14:15], s[40:41], -v[168:169]
	v_add_f64 v[56:57], v[170:171], v[56:57]
	v_mul_f64 v[170:171], v[134:135], s[56:57]
	s_delay_alu instid0(VALU_DEP_3) | instskip(NEXT) | instid1(VALU_DEP_2)
	v_add_f64 v[62:63], v[66:67], v[62:63]
	v_fma_f64 v[172:173], v[8:9], s[12:13], -v[170:171]
	v_fma_f64 v[66:67], v[8:9], s[12:13], v[170:171]
	s_delay_alu instid0(VALU_DEP_2) | instskip(SKIP_1) | instid1(VALU_DEP_3)
	v_add_f64 v[58:59], v[172:173], v[58:59]
	v_mul_f64 v[172:173], v[132:133], s[56:57]
	v_add_f64 v[60:61], v[66:67], v[60:61]
	s_delay_alu instid0(VALU_DEP_2) | instskip(SKIP_1) | instid1(VALU_DEP_2)
	v_fma_f64 v[174:175], v[10:11], s[12:13], v[172:173]
	v_fma_f64 v[66:67], v[10:11], s[12:13], -v[172:173]
	v_add_f64 v[56:57], v[174:175], v[56:57]
	v_mul_f64 v[174:175], v[30:31], s[36:37]
	s_delay_alu instid0(VALU_DEP_3) | instskip(NEXT) | instid1(VALU_DEP_2)
	v_add_f64 v[62:63], v[66:67], v[62:63]
	v_fma_f64 v[176:177], v[4:5], s[26:27], -v[174:175]
	v_fma_f64 v[66:67], v[4:5], s[26:27], v[174:175]
	s_delay_alu instid0(VALU_DEP_2) | instskip(SKIP_1) | instid1(VALU_DEP_3)
	v_add_f64 v[58:59], v[176:177], v[58:59]
	v_mul_f64 v[176:177], v[28:29], s[36:37]
	v_add_f64 v[60:61], v[66:67], v[60:61]
	s_delay_alu instid0(VALU_DEP_2) | instskip(SKIP_1) | instid1(VALU_DEP_2)
	v_fma_f64 v[66:67], v[6:7], s[26:27], -v[176:177]
	v_fma_f64 v[178:179], v[6:7], s[26:27], v[176:177]
	v_add_f64 v[62:63], v[66:67], v[62:63]
	v_fma_f64 v[66:67], v[0:1], s[24:25], v[183:184]
	s_delay_alu instid0(VALU_DEP_3)
	v_add_f64 v[178:179], v[178:179], v[56:57]
	v_fma_f64 v[56:57], v[0:1], s[24:25], -v[183:184]
	v_mul_f64 v[183:184], v[130:131], s[42:43]
	v_add_f64 v[62:63], v[152:153], v[62:63]
	v_add_f64 v[60:61], v[66:67], v[60:61]
	v_mul_f64 v[66:67], v[146:147], s[44:45]
	v_add_f64 v[56:57], v[56:57], v[58:59]
	v_fma_f64 v[58:59], v[2:3], s[24:25], v[185:186]
	v_mul_f64 v[185:186], v[118:119], s[42:43]
	s_delay_alu instid0(VALU_DEP_4) | instskip(SKIP_1) | instid1(VALU_DEP_4)
	v_fma_f64 v[152:153], v[100:101], s[14:15], -v[66:67]
	v_fma_f64 v[66:67], v[100:101], s[14:15], v[66:67]
	v_add_f64 v[58:59], v[58:59], v[178:179]
	s_delay_alu instid0(VALU_DEP_3) | instskip(SKIP_1) | instid1(VALU_DEP_4)
	v_add_f64 v[54:55], v[152:153], v[54:55]
	v_mul_f64 v[152:153], v[144:145], s[44:45]
	v_add_f64 v[50:51], v[66:67], v[50:51]
	s_delay_alu instid0(VALU_DEP_2) | instskip(SKIP_2) | instid1(VALU_DEP_3)
	v_fma_f64 v[154:155], v[102:103], s[14:15], v[152:153]
	v_fma_f64 v[66:67], v[102:103], s[14:15], -v[152:153]
	v_fma_f64 v[152:153], v[2:3], s[18:19], -v[185:186]
	v_add_f64 v[52:53], v[154:155], v[52:53]
	v_mul_f64 v[154:155], v[34:35], s[36:37]
	s_delay_alu instid0(VALU_DEP_4) | instskip(NEXT) | instid1(VALU_DEP_2)
	v_add_f64 v[48:49], v[66:67], v[48:49]
	v_fma_f64 v[160:161], v[20:21], s[26:27], -v[154:155]
	v_fma_f64 v[66:67], v[20:21], s[26:27], v[154:155]
	s_delay_alu instid0(VALU_DEP_2) | instskip(SKIP_1) | instid1(VALU_DEP_3)
	v_add_f64 v[54:55], v[160:161], v[54:55]
	v_mul_f64 v[160:161], v[32:33], s[36:37]
	v_add_f64 v[50:51], v[66:67], v[50:51]
	s_delay_alu instid0(VALU_DEP_2) | instskip(SKIP_1) | instid1(VALU_DEP_2)
	v_fma_f64 v[162:163], v[22:23], s[26:27], v[160:161]
	v_fma_f64 v[66:67], v[22:23], s[26:27], -v[160:161]
	v_add_f64 v[52:53], v[162:163], v[52:53]
	v_mul_f64 v[162:163], v[142:143], s[16:17]
	s_delay_alu instid0(VALU_DEP_3) | instskip(NEXT) | instid1(VALU_DEP_2)
	v_add_f64 v[48:49], v[66:67], v[48:49]
	v_fma_f64 v[164:165], v[16:17], s[30:31], -v[162:163]
	v_fma_f64 v[66:67], v[16:17], s[30:31], v[162:163]
	s_delay_alu instid0(VALU_DEP_2) | instskip(SKIP_1) | instid1(VALU_DEP_3)
	v_add_f64 v[54:55], v[164:165], v[54:55]
	v_mul_f64 v[164:165], v[140:141], s[16:17]
	v_add_f64 v[50:51], v[66:67], v[50:51]
	s_delay_alu instid0(VALU_DEP_2) | instskip(SKIP_1) | instid1(VALU_DEP_2)
	v_fma_f64 v[166:167], v[18:19], s[30:31], v[164:165]
	v_fma_f64 v[66:67], v[18:19], s[30:31], -v[164:165]
	v_add_f64 v[52:53], v[166:167], v[52:53]
	v_mul_f64 v[166:167], v[138:139], s[56:57]
	s_delay_alu instid0(VALU_DEP_3) | instskip(NEXT) | instid1(VALU_DEP_2)
	;; [unrolled: 13-line block ×4, first 2 shown]
	v_add_f64 v[48:49], v[66:67], v[48:49]
	v_fma_f64 v[176:177], v[4:5], s[40:41], -v[174:175]
	v_fma_f64 v[66:67], v[4:5], s[40:41], v[174:175]
	s_delay_alu instid0(VALU_DEP_2) | instskip(SKIP_1) | instid1(VALU_DEP_3)
	v_add_f64 v[54:55], v[176:177], v[54:55]
	v_mul_f64 v[176:177], v[28:29], s[38:39]
	v_add_f64 v[50:51], v[66:67], v[50:51]
	s_delay_alu instid0(VALU_DEP_2) | instskip(SKIP_1) | instid1(VALU_DEP_2)
	v_fma_f64 v[66:67], v[6:7], s[40:41], -v[176:177]
	v_fma_f64 v[178:179], v[6:7], s[40:41], v[176:177]
	v_add_f64 v[66:67], v[66:67], v[48:49]
	v_fma_f64 v[48:49], v[0:1], s[18:19], v[183:184]
	s_delay_alu instid0(VALU_DEP_3)
	v_add_f64 v[178:179], v[178:179], v[52:53]
	v_fma_f64 v[52:53], v[0:1], s[18:19], -v[183:184]
	v_mul_f64 v[183:184], v[130:131], s[2:3]
	v_mul_f64 v[130:131], v[130:131], s[56:57]
	v_add_f64 v[48:49], v[48:49], v[50:51]
	v_add_f64 v[50:51], v[152:153], v[66:67]
	v_mul_f64 v[66:67], v[146:147], s[42:43]
	v_add_f64 v[52:53], v[52:53], v[54:55]
	v_fma_f64 v[54:55], v[2:3], s[18:19], v[185:186]
	v_mul_f64 v[185:186], v[118:119], s[2:3]
	v_mul_f64 v[118:119], v[118:119], s[56:57]
	v_fma_f64 v[152:153], v[100:101], s[18:19], -v[66:67]
	v_fma_f64 v[66:67], v[100:101], s[18:19], v[66:67]
	v_add_f64 v[54:55], v[54:55], v[178:179]
	s_delay_alu instid0(VALU_DEP_3) | instskip(SKIP_1) | instid1(VALU_DEP_4)
	v_add_f64 v[46:47], v[152:153], v[46:47]
	v_mul_f64 v[152:153], v[144:145], s[42:43]
	v_add_f64 v[42:43], v[66:67], v[42:43]
	v_mul_f64 v[144:145], v[144:145], s[46:47]
	s_delay_alu instid0(VALU_DEP_3) | instskip(SKIP_2) | instid1(VALU_DEP_3)
	v_fma_f64 v[154:155], v[102:103], s[18:19], v[152:153]
	v_fma_f64 v[66:67], v[102:103], s[18:19], -v[152:153]
	v_fma_f64 v[152:153], v[2:3], s[14:15], -v[185:186]
	v_add_f64 v[44:45], v[154:155], v[44:45]
	v_mul_f64 v[154:155], v[34:35], s[20:21]
	s_delay_alu instid0(VALU_DEP_4) | instskip(SKIP_1) | instid1(VALU_DEP_3)
	v_add_f64 v[40:41], v[66:67], v[40:41]
	v_mul_f64 v[34:35], v[34:35], s[16:17]
	v_fma_f64 v[160:161], v[20:21], s[12:13], -v[154:155]
	v_fma_f64 v[66:67], v[20:21], s[12:13], v[154:155]
	s_delay_alu instid0(VALU_DEP_2) | instskip(SKIP_1) | instid1(VALU_DEP_3)
	v_add_f64 v[46:47], v[160:161], v[46:47]
	v_mul_f64 v[160:161], v[32:33], s[20:21]
	v_add_f64 v[42:43], v[66:67], v[42:43]
	v_mul_f64 v[32:33], v[32:33], s[16:17]
	s_delay_alu instid0(VALU_DEP_3) | instskip(SKIP_1) | instid1(VALU_DEP_2)
	v_fma_f64 v[162:163], v[22:23], s[12:13], v[160:161]
	v_fma_f64 v[66:67], v[22:23], s[12:13], -v[160:161]
	v_add_f64 v[44:45], v[162:163], v[44:45]
	v_mul_f64 v[162:163], v[142:143], s[54:55]
	s_delay_alu instid0(VALU_DEP_3) | instskip(SKIP_1) | instid1(VALU_DEP_3)
	v_add_f64 v[40:41], v[66:67], v[40:41]
	v_mul_f64 v[142:143], v[142:143], s[50:51]
	v_fma_f64 v[164:165], v[16:17], s[24:25], -v[162:163]
	v_fma_f64 v[66:67], v[16:17], s[24:25], v[162:163]
	s_delay_alu instid0(VALU_DEP_2) | instskip(SKIP_1) | instid1(VALU_DEP_3)
	v_add_f64 v[46:47], v[164:165], v[46:47]
	v_mul_f64 v[164:165], v[140:141], s[54:55]
	v_add_f64 v[42:43], v[66:67], v[42:43]
	v_mul_f64 v[140:141], v[140:141], s[50:51]
	s_delay_alu instid0(VALU_DEP_3) | instskip(SKIP_1) | instid1(VALU_DEP_2)
	v_fma_f64 v[166:167], v[18:19], s[24:25], v[164:165]
	v_fma_f64 v[66:67], v[18:19], s[24:25], -v[164:165]
	v_add_f64 v[44:45], v[166:167], v[44:45]
	v_mul_f64 v[166:167], v[138:139], s[36:37]
	s_delay_alu instid0(VALU_DEP_3) | instskip(SKIP_1) | instid1(VALU_DEP_3)
	;; [unrolled: 15-line block ×3, first 2 shown]
	v_add_f64 v[40:41], v[66:67], v[40:41]
	v_mul_f64 v[134:135], v[134:135], s[42:43]
	v_fma_f64 v[172:173], v[8:9], s[40:41], -v[170:171]
	v_fma_f64 v[66:67], v[8:9], s[40:41], v[170:171]
	s_delay_alu instid0(VALU_DEP_2) | instskip(SKIP_1) | instid1(VALU_DEP_3)
	v_add_f64 v[46:47], v[172:173], v[46:47]
	v_mul_f64 v[172:173], v[132:133], s[38:39]
	v_add_f64 v[42:43], v[66:67], v[42:43]
	v_mul_f64 v[132:133], v[132:133], s[42:43]
	s_delay_alu instid0(VALU_DEP_3) | instskip(SKIP_1) | instid1(VALU_DEP_2)
	v_fma_f64 v[174:175], v[10:11], s[40:41], v[172:173]
	v_fma_f64 v[66:67], v[10:11], s[40:41], -v[172:173]
	v_add_f64 v[44:45], v[174:175], v[44:45]
	v_mul_f64 v[174:175], v[30:31], s[50:51]
	s_delay_alu instid0(VALU_DEP_3) | instskip(NEXT) | instid1(VALU_DEP_2)
	v_add_f64 v[40:41], v[66:67], v[40:41]
	v_fma_f64 v[176:177], v[4:5], s[22:23], -v[174:175]
	v_fma_f64 v[66:67], v[4:5], s[22:23], v[174:175]
	s_delay_alu instid0(VALU_DEP_2) | instskip(SKIP_1) | instid1(VALU_DEP_3)
	v_add_f64 v[46:47], v[176:177], v[46:47]
	v_mul_f64 v[176:177], v[28:29], s[50:51]
	v_add_f64 v[42:43], v[66:67], v[42:43]
	s_delay_alu instid0(VALU_DEP_2) | instskip(SKIP_1) | instid1(VALU_DEP_2)
	v_fma_f64 v[66:67], v[6:7], s[22:23], -v[176:177]
	v_fma_f64 v[178:179], v[6:7], s[22:23], v[176:177]
	v_add_f64 v[66:67], v[66:67], v[40:41]
	v_fma_f64 v[40:41], v[0:1], s[14:15], v[183:184]
	s_delay_alu instid0(VALU_DEP_3) | instskip(SKIP_1) | instid1(VALU_DEP_3)
	v_add_f64 v[178:179], v[178:179], v[44:45]
	v_fma_f64 v[44:45], v[0:1], s[14:15], -v[183:184]
	v_add_f64 v[40:41], v[40:41], v[42:43]
	v_add_f64 v[42:43], v[152:153], v[66:67]
	v_mul_f64 v[66:67], v[146:147], s[46:47]
	s_delay_alu instid0(VALU_DEP_4) | instskip(SKIP_1) | instid1(VALU_DEP_3)
	v_add_f64 v[44:45], v[44:45], v[46:47]
	v_fma_f64 v[46:47], v[2:3], s[14:15], v[185:186]
	v_fma_f64 v[146:147], v[100:101], s[26:27], -v[66:67]
	s_delay_alu instid0(VALU_DEP_2) | instskip(NEXT) | instid1(VALU_DEP_2)
	v_add_f64 v[46:47], v[46:47], v[178:179]
	v_add_f64 v[38:39], v[146:147], v[38:39]
	v_fma_f64 v[146:147], v[102:103], s[26:27], v[144:145]
	s_delay_alu instid0(VALU_DEP_1) | instskip(SKIP_3) | instid1(VALU_DEP_3)
	v_add_f64 v[36:37], v[146:147], v[36:37]
	v_fma_f64 v[146:147], v[20:21], s[30:31], -v[34:35]
	v_fma_f64 v[34:35], v[20:21], s[30:31], v[34:35]
	v_fma_f64 v[20:21], v[20:21], s[18:19], v[108:109]
	v_add_f64 v[38:39], v[146:147], v[38:39]
	v_fma_f64 v[146:147], v[22:23], s[30:31], v[32:33]
	v_fma_f64 v[32:33], v[22:23], s[30:31], -v[32:33]
	v_fma_f64 v[22:23], v[22:23], s[18:19], -v[110:111]
	s_delay_alu instid0(VALU_DEP_3) | instskip(SKIP_1) | instid1(VALU_DEP_1)
	v_add_f64 v[36:37], v[146:147], v[36:37]
	v_fma_f64 v[146:147], v[16:17], s[22:23], -v[142:143]
	v_add_f64 v[38:39], v[146:147], v[38:39]
	v_fma_f64 v[146:147], v[18:19], s[22:23], v[140:141]
	s_delay_alu instid0(VALU_DEP_1) | instskip(SKIP_1) | instid1(VALU_DEP_1)
	v_add_f64 v[36:37], v[146:147], v[36:37]
	v_fma_f64 v[146:147], v[12:13], s[24:25], -v[138:139]
	v_add_f64 v[38:39], v[146:147], v[38:39]
	v_fma_f64 v[146:147], v[14:15], s[24:25], v[136:137]
	s_delay_alu instid0(VALU_DEP_1) | instskip(SKIP_1) | instid1(VALU_DEP_1)
	;; [unrolled: 5-line block ×3, first 2 shown]
	v_add_f64 v[36:37], v[146:147], v[36:37]
	v_mul_f64 v[146:147], v[30:31], s[2:3]
	v_fma_f64 v[30:31], v[4:5], s[14:15], -v[146:147]
	s_delay_alu instid0(VALU_DEP_1) | instskip(SKIP_1) | instid1(VALU_DEP_1)
	v_add_f64 v[30:31], v[30:31], v[38:39]
	v_mul_f64 v[38:39], v[28:29], s[2:3]
	v_fma_f64 v[28:29], v[6:7], s[14:15], v[38:39]
	s_delay_alu instid0(VALU_DEP_1) | instskip(SKIP_1) | instid1(VALU_DEP_1)
	v_add_f64 v[36:37], v[28:29], v[36:37]
	v_fma_f64 v[28:29], v[0:1], s[12:13], -v[130:131]
	v_add_f64 v[28:29], v[28:29], v[30:31]
	v_fma_f64 v[30:31], v[2:3], s[12:13], v[118:119]
	s_delay_alu instid0(VALU_DEP_1) | instskip(SKIP_2) | instid1(VALU_DEP_2)
	v_add_f64 v[30:31], v[30:31], v[36:37]
	v_fma_f64 v[36:37], v[100:101], s[26:27], v[66:67]
	v_fma_f64 v[66:67], v[102:103], s[26:27], -v[144:145]
	v_add_f64 v[36:37], v[36:37], v[150:151]
	s_delay_alu instid0(VALU_DEP_2) | instskip(NEXT) | instid1(VALU_DEP_2)
	v_add_f64 v[66:67], v[66:67], v[148:149]
	v_add_f64 v[34:35], v[34:35], v[36:37]
	v_fma_f64 v[36:37], v[16:17], s[22:23], v[142:143]
	s_delay_alu instid0(VALU_DEP_3) | instskip(SKIP_1) | instid1(VALU_DEP_3)
	v_add_f64 v[32:33], v[32:33], v[66:67]
	v_fma_f64 v[16:17], v[16:17], s[12:13], v[112:113]
	v_add_f64 v[34:35], v[36:37], v[34:35]
	v_fma_f64 v[36:37], v[18:19], s[22:23], -v[140:141]
	v_fma_f64 v[18:19], v[18:19], s[12:13], -v[114:115]
	s_delay_alu instid0(VALU_DEP_2) | instskip(SKIP_2) | instid1(VALU_DEP_2)
	v_add_f64 v[32:33], v[36:37], v[32:33]
	v_fma_f64 v[36:37], v[12:13], s[24:25], v[138:139]
	v_fma_f64 v[12:13], v[12:13], s[14:15], v[116:117]
	v_add_f64 v[34:35], v[36:37], v[34:35]
	v_fma_f64 v[36:37], v[14:15], s[24:25], -v[136:137]
	v_fma_f64 v[14:15], v[14:15], s[14:15], -v[120:121]
	s_delay_alu instid0(VALU_DEP_2) | instskip(SKIP_2) | instid1(VALU_DEP_2)
	v_add_f64 v[32:33], v[36:37], v[32:33]
	v_fma_f64 v[36:37], v[8:9], s[18:19], v[134:135]
	;; [unrolled: 7-line block ×3, first 2 shown]
	v_fma_f64 v[4:5], v[4:5], s[30:31], v[126:127]
	v_add_f64 v[34:35], v[36:37], v[34:35]
	v_fma_f64 v[36:37], v[6:7], s[14:15], -v[38:39]
	v_fma_f64 v[38:39], v[2:3], s[12:13], -v[118:119]
	;; [unrolled: 1-line block ×4, first 2 shown]
	s_delay_alu instid0(VALU_DEP_4) | instskip(SKIP_2) | instid1(VALU_DEP_2)
	v_add_f64 v[36:37], v[36:37], v[32:33]
	v_fma_f64 v[32:33], v[0:1], s[12:13], v[130:131]
	v_fma_f64 v[0:1], v[0:1], s[40:41], v[156:157]
	v_add_f64 v[32:33], v[32:33], v[34:35]
	s_delay_alu instid0(VALU_DEP_4) | instskip(SKIP_2) | instid1(VALU_DEP_2)
	v_add_f64 v[34:35], v[38:39], v[36:37]
	v_fma_f64 v[36:37], v[100:101], s[22:23], v[104:105]
	v_fma_f64 v[38:39], v[102:103], s[22:23], -v[106:107]
	v_add_f64 v[24:25], v[36:37], v[24:25]
	s_delay_alu instid0(VALU_DEP_2) | instskip(NEXT) | instid1(VALU_DEP_2)
	v_add_f64 v[26:27], v[38:39], v[26:27]
	v_add_f64 v[20:21], v[20:21], v[24:25]
	s_delay_alu instid0(VALU_DEP_2) | instskip(NEXT) | instid1(VALU_DEP_2)
	v_add_f64 v[22:23], v[22:23], v[26:27]
	;; [unrolled: 3-line block ×6, first 2 shown]
	v_add_f64 v[0:1], v[0:1], v[4:5]
	s_delay_alu instid0(VALU_DEP_2) | instskip(SKIP_1) | instid1(VALU_DEP_1)
	v_add_f64 v[2:3], v[2:3], v[6:7]
	v_mul_lo_u16 v4, v64, 17
	v_and_b32_e32 v4, 0xffff, v4
	v_lshlrev_b32_e32 v10, 8, v181
	s_delay_alu instid0(VALU_DEP_2)
	v_lshl_add_u32 v250, v4, 4, v65
	ds_store_b128 v250, v[68:71] offset:16
	ds_store_b128 v250, v[76:79] offset:32
	;; [unrolled: 1-line block ×16, first 2 shown]
	ds_store_b128 v250, v[72:75]
	s_waitcnt lgkmcnt(0)
	s_barrier
	buffer_gl0_inv
	s_clause 0x3
	global_load_b128 v[237:240], v10, s[10:11]
	global_load_b128 v[183:186], v10, s[10:11] offset:16
	global_load_b128 v[229:232], v10, s[10:11] offset:32
	;; [unrolled: 1-line block ×3, first 2 shown]
	ds_load_b128 v[2:5], v180 offset:272
	s_clause 0xb
	global_load_b128 v[84:87], v10, s[10:11] offset:64
	global_load_b128 v[88:91], v10, s[10:11] offset:80
	;; [unrolled: 1-line block ×12, first 2 shown]
	s_waitcnt vmcnt(15) lgkmcnt(0)
	v_mul_f64 v[0:1], v[4:5], v[239:240]
	s_delay_alu instid0(VALU_DEP_1) | instskip(SKIP_1) | instid1(VALU_DEP_1)
	v_fma_f64 v[0:1], v[2:3], v[237:238], -v[0:1]
	v_mul_f64 v[2:3], v[2:3], v[239:240]
	v_fma_f64 v[2:3], v[4:5], v[237:238], v[2:3]
	ds_load_b128 v[4:7], v180 offset:544
	s_waitcnt vmcnt(14) lgkmcnt(0)
	v_mul_f64 v[8:9], v[6:7], v[185:186]
	s_delay_alu instid0(VALU_DEP_1)
	v_fma_f64 v[68:69], v[4:5], v[183:184], -v[8:9]
	v_mul_f64 v[4:5], v[4:5], v[185:186]
	scratch_store_b64 off, v[68:69], off offset:280 ; 8-byte Folded Spill
	v_fma_f64 v[70:71], v[6:7], v[183:184], v[4:5]
	ds_load_b128 v[4:7], v180 offset:816
	s_waitcnt vmcnt(13) lgkmcnt(0)
	v_mul_f64 v[8:9], v[6:7], v[231:232]
	s_delay_alu instid0(VALU_DEP_1)
	v_fma_f64 v[72:73], v[4:5], v[229:230], -v[8:9]
	v_mul_f64 v[4:5], v[4:5], v[231:232]
	scratch_store_b64 off, v[72:73], off offset:312 ; 8-byte Folded Spill
	;; [unrolled: 8-line block ×4, first 2 shown]
	v_fma_f64 v[82:83], v[6:7], v[84:85], v[4:5]
	ds_load_b128 v[4:7], v180 offset:1632
	scratch_store_b64 off, v[197:198], off offset:352 ; 8-byte Folded Spill
	s_waitcnt vmcnt(10) lgkmcnt(0)
	v_mul_f64 v[8:9], v[6:7], v[90:91]
	scratch_store_b64 off, v[82:83], off offset:416 ; 8-byte Folded Spill
	v_fma_f64 v[156:157], v[4:5], v[88:89], -v[8:9]
	v_mul_f64 v[4:5], v[4:5], v[90:91]
	s_delay_alu instid0(VALU_DEP_1) | instskip(SKIP_3) | instid1(VALU_DEP_1)
	v_fma_f64 v[201:202], v[6:7], v[88:89], v[4:5]
	ds_load_b128 v[4:7], v180 offset:1904
	s_waitcnt vmcnt(9) lgkmcnt(0)
	v_mul_f64 v[8:9], v[6:7], v[94:95]
	v_fma_f64 v[203:204], v[4:5], v[92:93], -v[8:9]
	v_mul_f64 v[4:5], v[4:5], v[94:95]
	s_delay_alu instid0(VALU_DEP_1) | instskip(SKIP_3) | instid1(VALU_DEP_1)
	v_fma_f64 v[205:206], v[6:7], v[92:93], v[4:5]
	ds_load_b128 v[4:7], v180 offset:2176
	s_waitcnt vmcnt(8) lgkmcnt(0)
	v_mul_f64 v[8:9], v[6:7], v[98:99]
	v_fma_f64 v[207:208], v[4:5], v[96:97], -v[8:9]
	v_mul_f64 v[4:5], v[4:5], v[98:99]
	s_delay_alu instid0(VALU_DEP_1) | instskip(SKIP_3) | instid1(VALU_DEP_1)
	v_fma_f64 v[209:210], v[6:7], v[96:97], v[4:5]
	ds_load_b128 v[4:7], v180 offset:2448
	s_waitcnt vmcnt(7) lgkmcnt(0)
	v_mul_f64 v[8:9], v[6:7], v[102:103]
	v_fma_f64 v[211:212], v[4:5], v[100:101], -v[8:9]
	v_mul_f64 v[4:5], v[4:5], v[102:103]
	s_delay_alu instid0(VALU_DEP_1) | instskip(SKIP_3) | instid1(VALU_DEP_1)
	v_fma_f64 v[213:214], v[6:7], v[100:101], v[4:5]
	ds_load_b128 v[4:7], v180 offset:2720
	s_waitcnt vmcnt(6) lgkmcnt(0)
	v_mul_f64 v[8:9], v[6:7], v[106:107]
	v_fma_f64 v[215:216], v[4:5], v[104:105], -v[8:9]
	v_mul_f64 v[4:5], v[4:5], v[106:107]
	s_delay_alu instid0(VALU_DEP_1) | instskip(SKIP_3) | instid1(VALU_DEP_1)
	v_fma_f64 v[217:218], v[6:7], v[104:105], v[4:5]
	ds_load_b128 v[4:7], v180 offset:2992
	s_waitcnt vmcnt(5) lgkmcnt(0)
	v_mul_f64 v[8:9], v[6:7], v[110:111]
	v_fma_f64 v[219:220], v[4:5], v[108:109], -v[8:9]
	v_mul_f64 v[4:5], v[4:5], v[110:111]
	s_delay_alu instid0(VALU_DEP_1) | instskip(SKIP_3) | instid1(VALU_DEP_1)
	v_fma_f64 v[221:222], v[6:7], v[108:109], v[4:5]
	ds_load_b128 v[4:7], v180 offset:3264
	s_waitcnt vmcnt(4) lgkmcnt(0)
	v_mul_f64 v[8:9], v[6:7], v[114:115]
	v_fma_f64 v[223:224], v[4:5], v[112:113], -v[8:9]
	v_mul_f64 v[4:5], v[4:5], v[114:115]
	s_delay_alu instid0(VALU_DEP_1) | instskip(SKIP_3) | instid1(VALU_DEP_1)
	v_fma_f64 v[225:226], v[6:7], v[112:113], v[4:5]
	ds_load_b128 v[4:7], v180 offset:3536
	s_waitcnt vmcnt(3) lgkmcnt(0)
	v_mul_f64 v[8:9], v[6:7], v[122:123]
	v_fma_f64 v[227:228], v[4:5], v[120:121], -v[8:9]
	v_mul_f64 v[4:5], v[4:5], v[122:123]
	s_delay_alu instid0(VALU_DEP_1) | instskip(SKIP_3) | instid1(VALU_DEP_1)
	v_fma_f64 v[199:200], v[6:7], v[120:121], v[4:5]
	ds_load_b128 v[4:7], v180 offset:3808
	s_waitcnt vmcnt(2) lgkmcnt(0)
	v_mul_f64 v[8:9], v[6:7], v[126:127]
	v_fma_f64 v[195:196], v[4:5], v[124:125], -v[8:9]
	v_mul_f64 v[4:5], v[4:5], v[126:127]
	s_delay_alu instid0(VALU_DEP_1) | instskip(SKIP_3) | instid1(VALU_DEP_1)
	v_fma_f64 v[193:194], v[6:7], v[124:125], v[4:5]
	ds_load_b128 v[4:7], v180 offset:4080
	s_waitcnt vmcnt(1) lgkmcnt(0)
	v_mul_f64 v[8:9], v[6:7], v[130:131]
	v_fma_f64 v[191:192], v[4:5], v[128:129], -v[8:9]
	v_mul_f64 v[4:5], v[4:5], v[130:131]
	s_delay_alu instid0(VALU_DEP_2) | instskip(NEXT) | instid1(VALU_DEP_2)
	v_add_f64 v[251:252], v[68:69], v[191:192]
	v_fma_f64 v[189:190], v[6:7], v[128:129], v[4:5]
	ds_load_b128 v[4:7], v180 offset:4352
	s_waitcnt vmcnt(0) lgkmcnt(0)
	v_mul_f64 v[8:9], v[4:5], v[118:119]
	s_delay_alu instid0(VALU_DEP_1) | instskip(SKIP_1) | instid1(VALU_DEP_2)
	v_fma_f64 v[181:182], v[6:7], v[116:117], v[8:9]
	v_mul_f64 v[6:7], v[6:7], v[118:119]
	v_add_f64 v[52:53], v[2:3], v[181:182]
	s_delay_alu instid0(VALU_DEP_2) | instskip(SKIP_1) | instid1(VALU_DEP_2)
	v_fma_f64 v[241:242], v[4:5], v[116:117], -v[6:7]
	v_add_f64 v[4:5], v[2:3], -v[181:182]
	v_add_f64 v[20:21], v[0:1], v[241:242]
	s_delay_alu instid0(VALU_DEP_2)
	v_mul_f64 v[6:7], v[4:5], s[36:37]
	v_mul_f64 v[8:9], v[4:5], s[34:35]
	;; [unrolled: 1-line block ×8, first 2 shown]
	v_fma_f64 v[22:23], v[20:21], s[26:27], -v[6:7]
	v_fma_f64 v[24:25], v[20:21], s[26:27], v[6:7]
	v_fma_f64 v[26:27], v[20:21], s[22:23], -v[8:9]
	v_fma_f64 v[8:9], v[20:21], s[22:23], v[8:9]
	;; [unrolled: 2-line block ×8, first 2 shown]
	v_add_f64 v[4:5], v[0:1], -v[241:242]
	s_delay_alu instid0(VALU_DEP_1)
	v_mul_f64 v[6:7], v[4:5], s[36:37]
	v_mul_f64 v[40:41], v[4:5], s[34:35]
	;; [unrolled: 1-line block ×8, first 2 shown]
	v_fma_f64 v[54:55], v[52:53], s[26:27], v[6:7]
	v_fma_f64 v[56:57], v[52:53], s[26:27], -v[6:7]
	v_fma_f64 v[58:59], v[52:53], s[22:23], v[40:41]
	v_fma_f64 v[40:41], v[52:53], s[22:23], -v[40:41]
	;; [unrolled: 2-line block ×8, first 2 shown]
	ds_load_b128 v[4:7], v180
	s_waitcnt lgkmcnt(0)
	v_add_f64 v[142:143], v[4:5], v[8:9]
	v_add_f64 v[8:9], v[4:5], v[16:17]
	;; [unrolled: 1-line block ×22, first 2 shown]
	v_add_f64 v[66:67], v[72:73], -v[195:196]
	v_add_f64 v[64:65], v[197:198], -v[199:200]
	v_add_f64 v[28:29], v[176:177], v[227:228]
	v_add_f64 v[24:25], v[197:198], v[199:200]
	;; [unrolled: 1-line block ×3, first 2 shown]
	v_add_f64 v[46:47], v[201:202], -v[221:222]
	v_add_f64 v[14:15], v[156:157], v[219:220]
	v_add_f64 v[26:27], v[201:202], v[221:222]
	v_add_f64 v[30:31], v[205:206], -v[217:218]
	v_add_f64 v[34:35], v[205:206], v[217:218]
	v_add_f64 v[42:43], v[207:208], v[211:212]
	scratch_store_b64 off, v[8:9], off offset:400 ; 8-byte Folded Spill
	v_add_f64 v[8:9], v[6:7], v[48:49]
	scratch_store_b64 off, v[0:1], off offset:264 ; 8-byte Folded Spill
	v_add_f64 v[0:1], v[6:7], v[2:3]
	v_add_f64 v[2:3], v[6:7], v[54:55]
	v_add_f64 v[48:49], v[248:249], -v[223:224]
	v_add_f64 v[54:55], v[203:204], -v[215:216]
	v_mul_f64 v[60:61], v[64:65], s[20:21]
	v_mul_f64 v[44:45], v[46:47], s[8:9]
	;; [unrolled: 1-line block ×3, first 2 shown]
	scratch_store_b64 off, v[8:9], off offset:392 ; 8-byte Folded Spill
	v_add_f64 v[8:9], v[4:5], v[36:37]
	scratch_store_b64 off, v[0:1], off offset:272 ; 8-byte Folded Spill
	v_add_f64 v[0:1], v[4:5], v[22:23]
	v_add_f64 v[36:37], v[72:73], v[195:196]
	v_mul_f64 v[72:73], v[66:67], s[28:29]
	v_mul_f64 v[56:57], v[48:49], s[2:3]
	v_fma_f64 v[12:13], v[14:15], s[24:25], -v[44:45]
	v_fma_f64 v[44:45], v[14:15], s[24:25], v[44:45]
	scratch_store_b64 off, v[8:9], off offset:384 ; 8-byte Folded Spill
	v_add_f64 v[8:9], v[6:7], v[136:137]
	scratch_store_b64 off, v[8:9], off offset:376 ; 8-byte Folded Spill
	v_add_f64 v[8:9], v[4:5], v[18:19]
	v_add_f64 v[18:19], v[82:83], v[225:226]
	scratch_store_b64 off, v[8:9], off offset:368 ; 8-byte Folded Spill
	v_add_f64 v[8:9], v[6:7], v[50:51]
	v_add_f64 v[50:51], v[82:83], -v[225:226]
	v_dual_mov_b32 v82, v156 :: v_dual_mov_b32 v83, v157
	scratch_store_b64 off, v[8:9], off offset:360 ; 8-byte Folded Spill
	v_add_f64 v[8:9], v[4:5], v[38:39]
	v_add_f64 v[4:5], v[4:5], v[20:21]
	v_mul_f64 v[58:59], v[50:51], s[2:3]
	v_add_f64 v[38:39], v[156:157], -v[219:220]
	scratch_store_b64 off, v[8:9], off offset:336 ; 8-byte Folded Spill
	v_add_f64 v[8:9], v[6:7], v[138:139]
	scratch_store_b64 off, v[4:5], off offset:296 ; 8-byte Folded Spill
	v_add_f64 v[4:5], v[6:7], v[52:53]
	v_dual_mov_b32 v6, v70 :: v_dual_mov_b32 v7, v71
	v_add_f64 v[70:71], v[68:69], -v[191:192]
	v_add_f64 v[52:53], v[176:177], -v[227:228]
	v_mul_f64 v[40:41], v[38:39], s[8:9]
	s_delay_alu instid0(VALU_DEP_4) | instskip(SKIP_3) | instid1(VALU_DEP_1)
	v_add_f64 v[80:81], v[6:7], -v[189:190]
	scratch_store_b64 off, v[6:7], off offset:288 ; 8-byte Folded Spill
	v_add_f64 v[253:254], v[6:7], v[189:190]
	v_dual_mov_b32 v6, v74 :: v_dual_mov_b32 v7, v75
	v_add_f64 v[68:69], v[6:7], -v[193:194]
	scratch_store_b64 off, v[6:7], off offset:320 ; 8-byte Folded Spill
	v_add_f64 v[32:33], v[6:7], v[193:194]
	v_mul_f64 v[6:7], v[54:55], s[16:17]
	scratch_store_b64 off, v[8:9], off offset:328 ; 8-byte Folded Spill
	v_add_f64 v[8:9], v[209:210], v[213:214]
	scratch_store_b64 off, v[4:5], off offset:304 ; 8-byte Folded Spill
	v_mul_f64 v[76:77], v[70:71], s[34:35]
	v_mul_f64 v[62:63], v[52:53], s[20:21]
	;; [unrolled: 1-line block ×4, first 2 shown]
	s_delay_alu instid0(VALU_DEP_2) | instskip(SKIP_1) | instid1(VALU_DEP_2)
	v_fma_f64 v[4:5], v[251:252], s[22:23], -v[78:79]
	v_fma_f64 v[78:79], v[251:252], s[22:23], v[78:79]
	v_add_f64 v[0:1], v[4:5], v[0:1]
	v_fma_f64 v[4:5], v[253:254], s[22:23], v[76:77]
	s_delay_alu instid0(VALU_DEP_3) | instskip(SKIP_1) | instid1(VALU_DEP_3)
	v_add_f64 v[78:79], v[78:79], v[134:135]
	v_fma_f64 v[76:77], v[253:254], s[22:23], -v[76:77]
	v_add_f64 v[2:3], v[4:5], v[2:3]
	v_fma_f64 v[4:5], v[36:37], s[18:19], -v[74:75]
	v_fma_f64 v[74:75], v[36:37], s[18:19], v[74:75]
	s_delay_alu instid0(VALU_DEP_4) | instskip(NEXT) | instid1(VALU_DEP_3)
	v_add_f64 v[76:77], v[76:77], v[132:133]
	v_add_f64 v[0:1], v[4:5], v[0:1]
	v_fma_f64 v[4:5], v[32:33], s[18:19], v[72:73]
	s_delay_alu instid0(VALU_DEP_4) | instskip(SKIP_1) | instid1(VALU_DEP_3)
	v_add_f64 v[74:75], v[74:75], v[78:79]
	v_fma_f64 v[72:73], v[32:33], s[18:19], -v[72:73]
	v_add_f64 v[2:3], v[4:5], v[2:3]
	v_fma_f64 v[4:5], v[28:29], s[12:13], -v[60:61]
	v_fma_f64 v[60:61], v[28:29], s[12:13], v[60:61]
	s_delay_alu instid0(VALU_DEP_4) | instskip(NEXT) | instid1(VALU_DEP_3)
	v_add_f64 v[72:73], v[72:73], v[76:77]
	v_add_f64 v[0:1], v[4:5], v[0:1]
	v_fma_f64 v[4:5], v[24:25], s[12:13], v[62:63]
	s_delay_alu instid0(VALU_DEP_4) | instskip(SKIP_1) | instid1(VALU_DEP_3)
	v_add_f64 v[60:61], v[60:61], v[74:75]
	v_fma_f64 v[62:63], v[24:25], s[12:13], -v[62:63]
	v_add_f64 v[2:3], v[4:5], v[2:3]
	v_fma_f64 v[4:5], v[16:17], s[14:15], -v[58:59]
	v_fma_f64 v[58:59], v[16:17], s[14:15], v[58:59]
	s_delay_alu instid0(VALU_DEP_4) | instskip(NEXT) | instid1(VALU_DEP_3)
	v_add_f64 v[62:63], v[62:63], v[72:73]
	v_add_f64 v[0:1], v[4:5], v[0:1]
	v_fma_f64 v[4:5], v[18:19], s[14:15], v[56:57]
	s_delay_alu instid0(VALU_DEP_4) | instskip(SKIP_1) | instid1(VALU_DEP_4)
	v_add_f64 v[58:59], v[58:59], v[60:61]
	v_fma_f64 v[56:57], v[18:19], s[14:15], -v[56:57]
	v_add_f64 v[0:1], v[12:13], v[0:1]
	s_delay_alu instid0(VALU_DEP_4) | instskip(SKIP_1) | instid1(VALU_DEP_4)
	v_add_f64 v[2:3], v[4:5], v[2:3]
	v_fma_f64 v[12:13], v[26:27], s[24:25], v[40:41]
	v_add_f64 v[56:57], v[56:57], v[62:63]
	v_add_f64 v[44:45], v[44:45], v[58:59]
	v_fma_f64 v[40:41], v[26:27], s[24:25], -v[40:41]
	scratch_load_b64 v[4:5], off, off offset:400 ; 8-byte Folded Reload
	v_add_f64 v[20:21], v[12:13], v[2:3]
	v_add_f64 v[12:13], v[203:204], v[215:216]
	;; [unrolled: 1-line block ×3, first 2 shown]
	s_delay_alu instid0(VALU_DEP_2) | instskip(SKIP_1) | instid1(VALU_DEP_2)
	v_fma_f64 v[22:23], v[12:13], s[30:31], -v[10:11]
	v_fma_f64 v[10:11], v[12:13], s[30:31], v[10:11]
	v_add_f64 v[2:3], v[22:23], v[0:1]
	v_fma_f64 v[22:23], v[34:35], s[30:31], v[6:7]
	s_delay_alu instid0(VALU_DEP_3) | instskip(SKIP_1) | instid1(VALU_DEP_3)
	v_add_f64 v[10:11], v[10:11], v[44:45]
	v_fma_f64 v[6:7], v[34:35], s[30:31], -v[6:7]
	v_add_f64 v[138:139], v[22:23], v[20:21]
	v_add_f64 v[20:21], v[209:210], -v[213:214]
	s_delay_alu instid0(VALU_DEP_3) | instskip(SKIP_1) | instid1(VALU_DEP_3)
	v_add_f64 v[6:7], v[6:7], v[40:41]
	v_mul_f64 v[40:41], v[68:69], s[8:9]
	v_mul_f64 v[0:1], v[20:21], s[38:39]
	s_delay_alu instid0(VALU_DEP_2) | instskip(NEXT) | instid1(VALU_DEP_2)
	v_fma_f64 v[44:45], v[36:37], s[24:25], -v[40:41]
	v_fma_f64 v[22:23], v[42:43], s[40:41], -v[0:1]
	v_fma_f64 v[0:1], v[42:43], s[40:41], v[0:1]
	s_delay_alu instid0(VALU_DEP_2) | instskip(SKIP_1) | instid1(VALU_DEP_3)
	v_add_f64 v[136:137], v[22:23], v[2:3]
	v_add_f64 v[22:23], v[207:208], -v[211:212]
	v_add_f64 v[132:133], v[0:1], v[10:11]
	v_mul_f64 v[0:1], v[80:81], s[20:21]
	s_delay_alu instid0(VALU_DEP_3) | instskip(NEXT) | instid1(VALU_DEP_1)
	v_mul_f64 v[2:3], v[22:23], s[38:39]
	v_fma_f64 v[176:177], v[8:9], s[40:41], v[2:3]
	v_fma_f64 v[2:3], v[8:9], s[40:41], -v[2:3]
	s_delay_alu instid0(VALU_DEP_2) | instskip(NEXT) | instid1(VALU_DEP_2)
	v_add_f64 v[138:139], v[176:177], v[138:139]
	v_add_f64 v[134:135], v[2:3], v[6:7]
	v_fma_f64 v[2:3], v[251:252], s[12:13], -v[0:1]
	v_mul_f64 v[6:7], v[70:71], s[20:21]
	v_mul_f64 v[176:177], v[20:21], s[46:47]
	v_fma_f64 v[0:1], v[251:252], s[12:13], v[0:1]
	s_delay_alu instid0(VALU_DEP_4) | instskip(NEXT) | instid1(VALU_DEP_4)
	v_add_f64 v[2:3], v[2:3], v[146:147]
	v_fma_f64 v[10:11], v[253:254], s[12:13], v[6:7]
	v_fma_f64 v[6:7], v[253:254], s[12:13], -v[6:7]
	s_delay_alu instid0(VALU_DEP_4) | instskip(NEXT) | instid1(VALU_DEP_4)
	v_add_f64 v[0:1], v[0:1], v[142:143]
	v_add_f64 v[2:3], v[44:45], v[2:3]
	v_mul_f64 v[44:45], v[66:67], s[8:9]
	v_add_f64 v[10:11], v[10:11], v[144:145]
	v_add_f64 v[6:7], v[6:7], v[140:141]
	s_delay_alu instid0(VALU_DEP_3) | instskip(NEXT) | instid1(VALU_DEP_1)
	v_fma_f64 v[56:57], v[32:33], s[24:25], v[44:45]
	v_add_f64 v[10:11], v[56:57], v[10:11]
	v_mul_f64 v[56:57], v[64:65], s[38:39]
	s_delay_alu instid0(VALU_DEP_1) | instskip(NEXT) | instid1(VALU_DEP_1)
	v_fma_f64 v[58:59], v[28:29], s[40:41], -v[56:57]
	v_add_f64 v[2:3], v[58:59], v[2:3]
	v_mul_f64 v[58:59], v[52:53], s[38:39]
	s_delay_alu instid0(VALU_DEP_1) | instskip(NEXT) | instid1(VALU_DEP_1)
	v_fma_f64 v[60:61], v[24:25], s[40:41], v[58:59]
	v_add_f64 v[10:11], v[60:61], v[10:11]
	v_mul_f64 v[60:61], v[50:51], s[48:49]
	s_delay_alu instid0(VALU_DEP_1) | instskip(NEXT) | instid1(VALU_DEP_1)
	v_fma_f64 v[62:63], v[16:17], s[30:31], -v[60:61]
	v_add_f64 v[2:3], v[62:63], v[2:3]
	v_mul_f64 v[62:63], v[48:49], s[48:49]
	s_delay_alu instid0(VALU_DEP_1) | instskip(NEXT) | instid1(VALU_DEP_1)
	;; [unrolled: 8-line block ×4, first 2 shown]
	v_fma_f64 v[144:145], v[34:35], s[18:19], v[78:79]
	v_add_f64 v[10:11], v[144:145], v[10:11]
	v_fma_f64 v[144:145], v[42:43], s[26:27], -v[176:177]
	s_delay_alu instid0(VALU_DEP_1) | instskip(SKIP_1) | instid1(VALU_DEP_1)
	v_add_f64 v[144:145], v[144:145], v[2:3]
	v_mul_f64 v[2:3], v[22:23], s[46:47]
	v_fma_f64 v[146:147], v[8:9], s[26:27], v[2:3]
	v_fma_f64 v[2:3], v[8:9], s[26:27], -v[2:3]
	s_delay_alu instid0(VALU_DEP_2) | instskip(SKIP_2) | instid1(VALU_DEP_2)
	v_add_f64 v[146:147], v[146:147], v[10:11]
	v_fma_f64 v[10:11], v[36:37], s[24:25], v[40:41]
	v_mul_f64 v[40:41], v[68:69], s[52:53]
	v_add_f64 v[0:1], v[10:11], v[0:1]
	v_fma_f64 v[10:11], v[32:33], s[24:25], -v[44:45]
	s_delay_alu instid0(VALU_DEP_3) | instskip(NEXT) | instid1(VALU_DEP_2)
	v_fma_f64 v[44:45], v[36:37], s[40:41], -v[40:41]
	v_add_f64 v[6:7], v[10:11], v[6:7]
	v_fma_f64 v[10:11], v[28:29], s[40:41], v[56:57]
	s_delay_alu instid0(VALU_DEP_1) | instskip(SKIP_1) | instid1(VALU_DEP_1)
	v_add_f64 v[0:1], v[10:11], v[0:1]
	v_fma_f64 v[10:11], v[24:25], s[40:41], -v[58:59]
	v_add_f64 v[6:7], v[10:11], v[6:7]
	v_fma_f64 v[10:11], v[16:17], s[30:31], v[60:61]
	s_delay_alu instid0(VALU_DEP_1) | instskip(SKIP_1) | instid1(VALU_DEP_1)
	v_add_f64 v[0:1], v[10:11], v[0:1]
	;; [unrolled: 5-line block ×4, first 2 shown]
	v_fma_f64 v[10:11], v[34:35], s[18:19], -v[78:79]
	v_add_f64 v[6:7], v[10:11], v[6:7]
	v_fma_f64 v[10:11], v[42:43], s[26:27], v[176:177]
	v_mul_f64 v[176:177], v[20:21], s[16:17]
	s_delay_alu instid0(VALU_DEP_3) | instskip(NEXT) | instid1(VALU_DEP_3)
	v_add_f64 v[142:143], v[2:3], v[6:7]
	v_add_f64 v[140:141], v[10:11], v[0:1]
	v_mul_f64 v[0:1], v[80:81], s[8:9]
	v_mul_f64 v[6:7], v[70:71], s[8:9]
	s_delay_alu instid0(VALU_DEP_2) | instskip(NEXT) | instid1(VALU_DEP_2)
	v_fma_f64 v[2:3], v[251:252], s[24:25], -v[0:1]
	v_fma_f64 v[10:11], v[253:254], s[24:25], v[6:7]
	v_fma_f64 v[0:1], v[251:252], s[24:25], v[0:1]
	v_fma_f64 v[6:7], v[253:254], s[24:25], -v[6:7]
	s_delay_alu instid0(VALU_DEP_4) | instskip(NEXT) | instid1(VALU_DEP_4)
	v_add_f64 v[2:3], v[2:3], v[154:155]
	v_add_f64 v[10:11], v[10:11], v[152:153]
	s_delay_alu instid0(VALU_DEP_4) | instskip(NEXT) | instid1(VALU_DEP_4)
	v_add_f64 v[0:1], v[0:1], v[150:151]
	v_add_f64 v[6:7], v[6:7], v[148:149]
	s_delay_alu instid0(VALU_DEP_4) | instskip(SKIP_1) | instid1(VALU_DEP_1)
	v_add_f64 v[2:3], v[44:45], v[2:3]
	v_mul_f64 v[44:45], v[66:67], s[52:53]
	v_fma_f64 v[56:57], v[32:33], s[40:41], v[44:45]
	s_delay_alu instid0(VALU_DEP_1) | instskip(SKIP_1) | instid1(VALU_DEP_1)
	v_add_f64 v[10:11], v[56:57], v[10:11]
	v_mul_f64 v[56:57], v[64:65], s[44:45]
	v_fma_f64 v[58:59], v[28:29], s[14:15], -v[56:57]
	s_delay_alu instid0(VALU_DEP_1) | instskip(SKIP_1) | instid1(VALU_DEP_1)
	v_add_f64 v[2:3], v[58:59], v[2:3]
	v_mul_f64 v[58:59], v[52:53], s[44:45]
	v_fma_f64 v[60:61], v[24:25], s[14:15], v[58:59]
	s_delay_alu instid0(VALU_DEP_1) | instskip(SKIP_1) | instid1(VALU_DEP_1)
	v_add_f64 v[10:11], v[60:61], v[10:11]
	v_mul_f64 v[60:61], v[50:51], s[50:51]
	v_fma_f64 v[62:63], v[16:17], s[22:23], -v[60:61]
	s_delay_alu instid0(VALU_DEP_1) | instskip(SKIP_1) | instid1(VALU_DEP_1)
	;; [unrolled: 8-line block ×4, first 2 shown]
	v_add_f64 v[2:3], v[78:79], v[2:3]
	v_mul_f64 v[78:79], v[54:55], s[20:21]
	v_fma_f64 v[152:153], v[34:35], s[12:13], v[78:79]
	s_delay_alu instid0(VALU_DEP_1) | instskip(SKIP_1) | instid1(VALU_DEP_1)
	v_add_f64 v[10:11], v[152:153], v[10:11]
	v_fma_f64 v[152:153], v[42:43], s[30:31], -v[176:177]
	v_add_f64 v[152:153], v[152:153], v[2:3]
	v_mul_f64 v[2:3], v[22:23], s[16:17]
	s_delay_alu instid0(VALU_DEP_1) | instskip(SKIP_1) | instid1(VALU_DEP_2)
	v_fma_f64 v[154:155], v[8:9], s[30:31], v[2:3]
	v_fma_f64 v[2:3], v[8:9], s[30:31], -v[2:3]
	v_add_f64 v[154:155], v[154:155], v[10:11]
	v_fma_f64 v[10:11], v[36:37], s[40:41], v[40:41]
	v_mul_f64 v[40:41], v[68:69], s[44:45]
	s_delay_alu instid0(VALU_DEP_2) | instskip(SKIP_1) | instid1(VALU_DEP_3)
	v_add_f64 v[0:1], v[10:11], v[0:1]
	v_fma_f64 v[10:11], v[32:33], s[40:41], -v[44:45]
	v_fma_f64 v[44:45], v[36:37], s[14:15], -v[40:41]
	s_delay_alu instid0(VALU_DEP_2) | instskip(SKIP_1) | instid1(VALU_DEP_1)
	v_add_f64 v[6:7], v[10:11], v[6:7]
	v_fma_f64 v[10:11], v[28:29], s[14:15], v[56:57]
	v_add_f64 v[0:1], v[10:11], v[0:1]
	v_fma_f64 v[10:11], v[24:25], s[14:15], -v[58:59]
	s_delay_alu instid0(VALU_DEP_1) | instskip(SKIP_1) | instid1(VALU_DEP_1)
	v_add_f64 v[6:7], v[10:11], v[6:7]
	v_fma_f64 v[10:11], v[16:17], s[22:23], v[60:61]
	v_add_f64 v[0:1], v[10:11], v[0:1]
	v_fma_f64 v[10:11], v[18:19], s[22:23], -v[62:63]
	s_delay_alu instid0(VALU_DEP_1) | instskip(SKIP_1) | instid1(VALU_DEP_1)
	;; [unrolled: 5-line block ×3, first 2 shown]
	v_add_f64 v[6:7], v[10:11], v[6:7]
	v_fma_f64 v[10:11], v[12:13], s[12:13], v[76:77]
	v_add_f64 v[0:1], v[10:11], v[0:1]
	v_fma_f64 v[10:11], v[34:35], s[12:13], -v[78:79]
	s_delay_alu instid0(VALU_DEP_1) | instskip(SKIP_2) | instid1(VALU_DEP_3)
	v_add_f64 v[6:7], v[10:11], v[6:7]
	v_fma_f64 v[10:11], v[42:43], s[30:31], v[176:177]
	v_mul_f64 v[176:177], v[20:21], s[50:51]
	v_add_f64 v[150:151], v[2:3], v[6:7]
	s_delay_alu instid0(VALU_DEP_3) | instskip(SKIP_2) | instid1(VALU_DEP_2)
	v_add_f64 v[148:149], v[10:11], v[0:1]
	v_mul_f64 v[0:1], v[80:81], s[38:39]
	v_mul_f64 v[6:7], v[70:71], s[38:39]
	v_fma_f64 v[2:3], v[251:252], s[40:41], -v[0:1]
	s_delay_alu instid0(VALU_DEP_2) | instskip(SKIP_2) | instid1(VALU_DEP_4)
	v_fma_f64 v[10:11], v[253:254], s[40:41], v[6:7]
	v_fma_f64 v[0:1], v[251:252], s[40:41], v[0:1]
	v_fma_f64 v[6:7], v[253:254], s[40:41], -v[6:7]
	v_add_f64 v[2:3], v[2:3], v[162:163]
	s_delay_alu instid0(VALU_DEP_4) | instskip(NEXT) | instid1(VALU_DEP_4)
	v_add_f64 v[10:11], v[10:11], v[160:161]
	v_add_f64 v[0:1], v[0:1], v[158:159]
	s_delay_alu instid0(VALU_DEP_4) | instskip(NEXT) | instid1(VALU_DEP_4)
	v_add_f64 v[6:7], v[6:7], v[164:165]
	v_add_f64 v[2:3], v[44:45], v[2:3]
	v_mul_f64 v[44:45], v[66:67], s[44:45]
	s_delay_alu instid0(VALU_DEP_1) | instskip(NEXT) | instid1(VALU_DEP_1)
	v_fma_f64 v[56:57], v[32:33], s[14:15], v[44:45]
	v_add_f64 v[10:11], v[56:57], v[10:11]
	v_mul_f64 v[56:57], v[64:65], s[46:47]
	s_delay_alu instid0(VALU_DEP_1) | instskip(NEXT) | instid1(VALU_DEP_1)
	v_fma_f64 v[58:59], v[28:29], s[26:27], -v[56:57]
	v_add_f64 v[2:3], v[58:59], v[2:3]
	v_mul_f64 v[58:59], v[52:53], s[46:47]
	s_delay_alu instid0(VALU_DEP_1) | instskip(NEXT) | instid1(VALU_DEP_1)
	v_fma_f64 v[60:61], v[24:25], s[26:27], v[58:59]
	v_add_f64 v[10:11], v[60:61], v[10:11]
	v_mul_f64 v[60:61], v[50:51], s[28:29]
	s_delay_alu instid0(VALU_DEP_1) | instskip(NEXT) | instid1(VALU_DEP_1)
	v_fma_f64 v[62:63], v[16:17], s[18:19], -v[60:61]
	;; [unrolled: 8-line block ×4, first 2 shown]
	v_add_f64 v[2:3], v[78:79], v[2:3]
	v_mul_f64 v[78:79], v[54:55], s[54:55]
	s_delay_alu instid0(VALU_DEP_1) | instskip(NEXT) | instid1(VALU_DEP_1)
	v_fma_f64 v[160:161], v[34:35], s[24:25], v[78:79]
	v_add_f64 v[10:11], v[160:161], v[10:11]
	v_fma_f64 v[160:161], v[42:43], s[22:23], -v[176:177]
	s_delay_alu instid0(VALU_DEP_1) | instskip(SKIP_1) | instid1(VALU_DEP_1)
	v_add_f64 v[160:161], v[160:161], v[2:3]
	v_mul_f64 v[2:3], v[22:23], s[50:51]
	v_fma_f64 v[162:163], v[8:9], s[22:23], v[2:3]
	v_fma_f64 v[2:3], v[8:9], s[22:23], -v[2:3]
	s_delay_alu instid0(VALU_DEP_2) | instskip(SKIP_2) | instid1(VALU_DEP_2)
	v_add_f64 v[162:163], v[162:163], v[10:11]
	v_fma_f64 v[10:11], v[36:37], s[14:15], v[40:41]
	v_mul_f64 v[40:41], v[68:69], s[50:51]
	v_add_f64 v[0:1], v[10:11], v[0:1]
	v_fma_f64 v[10:11], v[32:33], s[14:15], -v[44:45]
	s_delay_alu instid0(VALU_DEP_3) | instskip(NEXT) | instid1(VALU_DEP_2)
	v_fma_f64 v[44:45], v[36:37], s[22:23], -v[40:41]
	v_add_f64 v[6:7], v[10:11], v[6:7]
	v_fma_f64 v[10:11], v[28:29], s[26:27], v[56:57]
	s_delay_alu instid0(VALU_DEP_1) | instskip(SKIP_1) | instid1(VALU_DEP_1)
	v_add_f64 v[0:1], v[10:11], v[0:1]
	v_fma_f64 v[10:11], v[24:25], s[26:27], -v[58:59]
	v_add_f64 v[6:7], v[10:11], v[6:7]
	v_fma_f64 v[10:11], v[16:17], s[18:19], v[60:61]
	s_delay_alu instid0(VALU_DEP_1) | instskip(SKIP_1) | instid1(VALU_DEP_1)
	v_add_f64 v[0:1], v[10:11], v[0:1]
	;; [unrolled: 5-line block ×4, first 2 shown]
	v_fma_f64 v[10:11], v[34:35], s[24:25], -v[78:79]
	v_add_f64 v[6:7], v[10:11], v[6:7]
	v_fma_f64 v[10:11], v[42:43], s[22:23], v[176:177]
	v_mul_f64 v[176:177], v[20:21], s[8:9]
	s_delay_alu instid0(VALU_DEP_3) | instskip(NEXT) | instid1(VALU_DEP_3)
	v_add_f64 v[158:159], v[2:3], v[6:7]
	v_add_f64 v[156:157], v[10:11], v[0:1]
	v_mul_f64 v[0:1], v[80:81], s[48:49]
	v_mul_f64 v[6:7], v[70:71], s[48:49]
	s_delay_alu instid0(VALU_DEP_2) | instskip(NEXT) | instid1(VALU_DEP_2)
	v_fma_f64 v[2:3], v[251:252], s[30:31], -v[0:1]
	v_fma_f64 v[10:11], v[253:254], s[30:31], v[6:7]
	v_fma_f64 v[0:1], v[251:252], s[30:31], v[0:1]
	v_fma_f64 v[6:7], v[253:254], s[30:31], -v[6:7]
	s_delay_alu instid0(VALU_DEP_4) | instskip(NEXT) | instid1(VALU_DEP_4)
	v_add_f64 v[2:3], v[2:3], v[170:171]
	v_add_f64 v[10:11], v[10:11], v[168:169]
	s_delay_alu instid0(VALU_DEP_4) | instskip(NEXT) | instid1(VALU_DEP_4)
	v_add_f64 v[0:1], v[0:1], v[166:167]
	v_add_f64 v[6:7], v[6:7], v[172:173]
	s_delay_alu instid0(VALU_DEP_4) | instskip(SKIP_1) | instid1(VALU_DEP_1)
	v_add_f64 v[2:3], v[44:45], v[2:3]
	v_mul_f64 v[44:45], v[66:67], s[50:51]
	v_fma_f64 v[56:57], v[32:33], s[22:23], v[44:45]
	s_delay_alu instid0(VALU_DEP_1) | instskip(SKIP_1) | instid1(VALU_DEP_1)
	v_add_f64 v[10:11], v[56:57], v[10:11]
	v_mul_f64 v[56:57], v[64:65], s[28:29]
	v_fma_f64 v[58:59], v[28:29], s[18:19], -v[56:57]
	s_delay_alu instid0(VALU_DEP_1) | instskip(SKIP_1) | instid1(VALU_DEP_1)
	v_add_f64 v[2:3], v[58:59], v[2:3]
	v_mul_f64 v[58:59], v[52:53], s[28:29]
	v_fma_f64 v[60:61], v[24:25], s[18:19], v[58:59]
	s_delay_alu instid0(VALU_DEP_1) | instskip(SKIP_1) | instid1(VALU_DEP_1)
	v_add_f64 v[10:11], v[60:61], v[10:11]
	v_mul_f64 v[60:61], v[50:51], s[38:39]
	v_fma_f64 v[62:63], v[16:17], s[40:41], -v[60:61]
	s_delay_alu instid0(VALU_DEP_1) | instskip(SKIP_1) | instid1(VALU_DEP_1)
	;; [unrolled: 8-line block ×4, first 2 shown]
	v_add_f64 v[2:3], v[78:79], v[2:3]
	v_mul_f64 v[78:79], v[54:55], s[36:37]
	v_fma_f64 v[168:169], v[34:35], s[26:27], v[78:79]
	s_delay_alu instid0(VALU_DEP_1) | instskip(SKIP_1) | instid1(VALU_DEP_1)
	v_add_f64 v[10:11], v[168:169], v[10:11]
	v_fma_f64 v[168:169], v[42:43], s[24:25], -v[176:177]
	v_add_f64 v[168:169], v[168:169], v[2:3]
	v_mul_f64 v[2:3], v[22:23], s[8:9]
	s_delay_alu instid0(VALU_DEP_1) | instskip(SKIP_1) | instid1(VALU_DEP_2)
	v_fma_f64 v[170:171], v[8:9], s[24:25], v[2:3]
	v_fma_f64 v[2:3], v[8:9], s[24:25], -v[2:3]
	v_add_f64 v[170:171], v[170:171], v[10:11]
	v_fma_f64 v[10:11], v[36:37], s[22:23], v[40:41]
	v_mul_f64 v[40:41], v[68:69], s[36:37]
	s_delay_alu instid0(VALU_DEP_2) | instskip(SKIP_1) | instid1(VALU_DEP_3)
	v_add_f64 v[0:1], v[10:11], v[0:1]
	v_fma_f64 v[10:11], v[32:33], s[22:23], -v[44:45]
	v_fma_f64 v[44:45], v[36:37], s[26:27], -v[40:41]
	s_delay_alu instid0(VALU_DEP_2) | instskip(SKIP_1) | instid1(VALU_DEP_1)
	v_add_f64 v[6:7], v[10:11], v[6:7]
	v_fma_f64 v[10:11], v[28:29], s[18:19], v[56:57]
	v_add_f64 v[0:1], v[10:11], v[0:1]
	v_fma_f64 v[10:11], v[24:25], s[18:19], -v[58:59]
	s_delay_alu instid0(VALU_DEP_1) | instskip(SKIP_1) | instid1(VALU_DEP_1)
	v_add_f64 v[6:7], v[10:11], v[6:7]
	v_fma_f64 v[10:11], v[16:17], s[40:41], v[60:61]
	v_add_f64 v[0:1], v[10:11], v[0:1]
	v_fma_f64 v[10:11], v[18:19], s[40:41], -v[62:63]
	s_delay_alu instid0(VALU_DEP_1) | instskip(SKIP_1) | instid1(VALU_DEP_1)
	v_add_f64 v[6:7], v[10:11], v[6:7]
	v_fma_f64 v[10:11], v[14:15], s[12:13], v[72:73]
	v_add_f64 v[0:1], v[10:11], v[0:1]
	v_fma_f64 v[10:11], v[26:27], s[12:13], -v[74:75]
	s_delay_alu instid0(VALU_DEP_1) | instskip(SKIP_1) | instid1(VALU_DEP_1)
	v_add_f64 v[6:7], v[10:11], v[6:7]
	v_fma_f64 v[10:11], v[12:13], s[26:27], v[76:77]
	v_add_f64 v[0:1], v[10:11], v[0:1]
	v_fma_f64 v[10:11], v[34:35], s[26:27], -v[78:79]
	s_delay_alu instid0(VALU_DEP_1) | instskip(SKIP_2) | instid1(VALU_DEP_3)
	v_add_f64 v[6:7], v[10:11], v[6:7]
	v_fma_f64 v[10:11], v[42:43], s[24:25], v[176:177]
	v_mul_f64 v[176:177], v[20:21], s[42:43]
	v_add_f64 v[166:167], v[2:3], v[6:7]
	s_delay_alu instid0(VALU_DEP_3) | instskip(SKIP_2) | instid1(VALU_DEP_2)
	v_add_f64 v[164:165], v[10:11], v[0:1]
	v_mul_f64 v[0:1], v[80:81], s[44:45]
	v_mul_f64 v[6:7], v[70:71], s[44:45]
	v_fma_f64 v[2:3], v[251:252], s[14:15], -v[0:1]
	s_delay_alu instid0(VALU_DEP_2) | instskip(SKIP_2) | instid1(VALU_DEP_4)
	v_fma_f64 v[10:11], v[253:254], s[14:15], v[6:7]
	v_fma_f64 v[0:1], v[251:252], s[14:15], v[0:1]
	v_fma_f64 v[6:7], v[253:254], s[14:15], -v[6:7]
	v_add_f64 v[2:3], v[2:3], v[174:175]
	s_delay_alu instid0(VALU_DEP_4) | instskip(SKIP_1) | instid1(VALU_DEP_4)
	v_add_f64 v[10:11], v[10:11], v[178:179]
	s_waitcnt vmcnt(0)
	v_add_f64 v[0:1], v[0:1], v[4:5]
	scratch_load_b64 v[4:5], off, off offset:392 ; 8-byte Folded Reload
	v_add_f64 v[2:3], v[44:45], v[2:3]
	v_mul_f64 v[44:45], v[66:67], s[36:37]
	s_delay_alu instid0(VALU_DEP_1) | instskip(NEXT) | instid1(VALU_DEP_1)
	v_fma_f64 v[56:57], v[32:33], s[26:27], v[44:45]
	v_add_f64 v[10:11], v[56:57], v[10:11]
	v_mul_f64 v[56:57], v[64:65], s[16:17]
	s_delay_alu instid0(VALU_DEP_1) | instskip(NEXT) | instid1(VALU_DEP_1)
	v_fma_f64 v[58:59], v[28:29], s[30:31], -v[56:57]
	v_add_f64 v[2:3], v[58:59], v[2:3]
	v_mul_f64 v[58:59], v[52:53], s[16:17]
	s_delay_alu instid0(VALU_DEP_1) | instskip(NEXT) | instid1(VALU_DEP_1)
	v_fma_f64 v[60:61], v[24:25], s[30:31], v[58:59]
	v_add_f64 v[10:11], v[60:61], v[10:11]
	v_mul_f64 v[60:61], v[50:51], s[56:57]
	s_delay_alu instid0(VALU_DEP_1) | instskip(SKIP_3) | instid1(VALU_DEP_3)
	v_fma_f64 v[62:63], v[16:17], s[12:13], -v[60:61]
	s_waitcnt vmcnt(0)
	v_add_f64 v[6:7], v[6:7], v[4:5]
	v_mul_f64 v[4:5], v[80:81], s[42:43]
	v_add_f64 v[2:3], v[62:63], v[2:3]
	v_mul_f64 v[62:63], v[48:49], s[56:57]
	s_delay_alu instid0(VALU_DEP_1) | instskip(NEXT) | instid1(VALU_DEP_1)
	v_fma_f64 v[72:73], v[18:19], s[12:13], v[62:63]
	v_add_f64 v[10:11], v[72:73], v[10:11]
	v_mul_f64 v[72:73], v[46:47], s[34:35]
	s_delay_alu instid0(VALU_DEP_1) | instskip(NEXT) | instid1(VALU_DEP_1)
	v_fma_f64 v[74:75], v[14:15], s[22:23], -v[72:73]
	v_add_f64 v[2:3], v[74:75], v[2:3]
	v_mul_f64 v[74:75], v[38:39], s[34:35]
	s_delay_alu instid0(VALU_DEP_1) | instskip(NEXT) | instid1(VALU_DEP_1)
	v_fma_f64 v[76:77], v[26:27], s[22:23], v[74:75]
	v_add_f64 v[10:11], v[76:77], v[10:11]
	v_mul_f64 v[76:77], v[30:31], s[38:39]
	s_delay_alu instid0(VALU_DEP_1) | instskip(NEXT) | instid1(VALU_DEP_1)
	v_fma_f64 v[78:79], v[12:13], s[40:41], -v[76:77]
	v_add_f64 v[2:3], v[78:79], v[2:3]
	v_mul_f64 v[78:79], v[54:55], s[38:39]
	s_delay_alu instid0(VALU_DEP_1) | instskip(NEXT) | instid1(VALU_DEP_1)
	v_fma_f64 v[172:173], v[34:35], s[40:41], v[78:79]
	v_add_f64 v[10:11], v[172:173], v[10:11]
	v_fma_f64 v[172:173], v[42:43], s[18:19], -v[176:177]
	s_delay_alu instid0(VALU_DEP_1) | instskip(SKIP_1) | instid1(VALU_DEP_1)
	v_add_f64 v[172:173], v[172:173], v[2:3]
	v_mul_f64 v[2:3], v[22:23], s[42:43]
	v_fma_f64 v[174:175], v[8:9], s[18:19], v[2:3]
	v_fma_f64 v[2:3], v[8:9], s[18:19], -v[2:3]
	s_delay_alu instid0(VALU_DEP_2) | instskip(SKIP_2) | instid1(VALU_DEP_2)
	v_add_f64 v[174:175], v[174:175], v[10:11]
	v_fma_f64 v[10:11], v[36:37], s[26:27], v[40:41]
	v_mul_f64 v[40:41], v[68:69], s[20:21]
	v_add_f64 v[0:1], v[10:11], v[0:1]
	v_fma_f64 v[10:11], v[32:33], s[26:27], -v[44:45]
	s_delay_alu instid0(VALU_DEP_3) | instskip(SKIP_1) | instid1(VALU_DEP_3)
	v_fma_f64 v[44:45], v[36:37], s[12:13], -v[40:41]
	v_fma_f64 v[40:41], v[36:37], s[12:13], v[40:41]
	v_add_f64 v[6:7], v[10:11], v[6:7]
	v_fma_f64 v[10:11], v[28:29], s[30:31], v[56:57]
	s_delay_alu instid0(VALU_DEP_1) | instskip(SKIP_1) | instid1(VALU_DEP_1)
	v_add_f64 v[0:1], v[10:11], v[0:1]
	v_fma_f64 v[10:11], v[24:25], s[30:31], -v[58:59]
	v_add_f64 v[6:7], v[10:11], v[6:7]
	v_fma_f64 v[10:11], v[16:17], s[12:13], v[60:61]
	v_mul_f64 v[60:61], v[64:65], s[54:55]
	s_delay_alu instid0(VALU_DEP_2) | instskip(SKIP_3) | instid1(VALU_DEP_3)
	v_add_f64 v[0:1], v[10:11], v[0:1]
	v_fma_f64 v[10:11], v[18:19], s[12:13], -v[62:63]
	v_mul_f64 v[62:63], v[52:53], s[54:55]
	v_mul_f64 v[52:53], v[52:53], s[50:51]
	v_add_f64 v[6:7], v[10:11], v[6:7]
	v_fma_f64 v[10:11], v[14:15], s[22:23], v[72:73]
	v_mul_f64 v[72:73], v[50:51], s[36:37]
	v_mul_f64 v[50:51], v[50:51], s[8:9]
	s_delay_alu instid0(VALU_DEP_3) | instskip(SKIP_3) | instid1(VALU_DEP_3)
	v_add_f64 v[0:1], v[10:11], v[0:1]
	v_fma_f64 v[10:11], v[26:27], s[22:23], -v[74:75]
	v_mul_f64 v[74:75], v[48:49], s[36:37]
	v_mul_f64 v[48:49], v[48:49], s[8:9]
	v_add_f64 v[6:7], v[10:11], v[6:7]
	v_fma_f64 v[10:11], v[12:13], s[40:41], v[76:77]
	v_mul_f64 v[76:77], v[46:47], s[38:39]
	v_mul_f64 v[46:47], v[46:47], s[42:43]
	s_delay_alu instid0(VALU_DEP_3) | instskip(SKIP_3) | instid1(VALU_DEP_3)
	v_add_f64 v[0:1], v[10:11], v[0:1]
	v_fma_f64 v[10:11], v[34:35], s[40:41], -v[78:79]
	v_mul_f64 v[78:79], v[38:39], s[38:39]
	v_mul_f64 v[38:39], v[38:39], s[42:43]
	v_add_f64 v[6:7], v[10:11], v[6:7]
	v_fma_f64 v[10:11], v[42:43], s[18:19], v[176:177]
	s_delay_alu instid0(VALU_DEP_2) | instskip(NEXT) | instid1(VALU_DEP_2)
	v_add_f64 v[178:179], v[2:3], v[6:7]
	v_add_f64 v[176:177], v[10:11], v[0:1]
	scratch_load_b64 v[0:1], off, off offset:384 ; 8-byte Folded Reload
	v_fma_f64 v[2:3], v[251:252], s[18:19], -v[4:5]
	v_mul_f64 v[6:7], v[70:71], s[42:43]
	v_fma_f64 v[4:5], v[251:252], s[18:19], v[4:5]
	s_delay_alu instid0(VALU_DEP_2)
	v_fma_f64 v[10:11], v[253:254], s[18:19], v[6:7]
	v_fma_f64 v[6:7], v[253:254], s[18:19], -v[6:7]
	s_waitcnt vmcnt(0)
	v_add_f64 v[2:3], v[2:3], v[0:1]
	scratch_load_b64 v[0:1], off, off offset:376 ; 8-byte Folded Reload
	v_add_f64 v[2:3], v[44:45], v[2:3]
	v_mul_f64 v[44:45], v[66:67], s[20:21]
	s_delay_alu instid0(VALU_DEP_1) | instskip(SKIP_4) | instid1(VALU_DEP_3)
	v_fma_f64 v[56:57], v[32:33], s[12:13], v[44:45]
	s_waitcnt vmcnt(0)
	v_add_f64 v[10:11], v[10:11], v[0:1]
	v_mul_f64 v[0:1], v[30:31], s[50:51]
	v_mul_f64 v[30:31], v[30:31], s[2:3]
	v_add_f64 v[10:11], v[56:57], v[10:11]
	v_fma_f64 v[56:57], v[28:29], s[24:25], -v[60:61]
	s_delay_alu instid0(VALU_DEP_1) | instskip(SKIP_1) | instid1(VALU_DEP_1)
	v_add_f64 v[2:3], v[56:57], v[2:3]
	v_fma_f64 v[56:57], v[24:25], s[24:25], v[62:63]
	v_add_f64 v[10:11], v[56:57], v[10:11]
	v_fma_f64 v[56:57], v[16:17], s[26:27], -v[72:73]
	s_delay_alu instid0(VALU_DEP_1) | instskip(SKIP_1) | instid1(VALU_DEP_1)
	v_add_f64 v[2:3], v[56:57], v[2:3]
	v_fma_f64 v[56:57], v[18:19], s[26:27], v[74:75]
	;; [unrolled: 5-line block ×3, first 2 shown]
	v_add_f64 v[10:11], v[56:57], v[10:11]
	v_fma_f64 v[56:57], v[12:13], s[22:23], -v[0:1]
	v_fma_f64 v[0:1], v[12:13], s[22:23], v[0:1]
	s_delay_alu instid0(VALU_DEP_2) | instskip(SKIP_2) | instid1(VALU_DEP_2)
	v_add_f64 v[56:57], v[56:57], v[2:3]
	v_mul_f64 v[2:3], v[54:55], s[50:51]
	v_mul_f64 v[54:55], v[54:55], s[2:3]
	v_fma_f64 v[58:59], v[34:35], s[22:23], v[2:3]
	v_fma_f64 v[2:3], v[34:35], s[22:23], -v[2:3]
	s_delay_alu instid0(VALU_DEP_2) | instskip(SKIP_1) | instid1(VALU_DEP_1)
	v_add_f64 v[58:59], v[58:59], v[10:11]
	v_mul_f64 v[10:11], v[20:21], s[2:3]
	v_fma_f64 v[248:249], v[42:43], s[14:15], -v[10:11]
	s_delay_alu instid0(VALU_DEP_1) | instskip(SKIP_1) | instid1(VALU_DEP_1)
	v_add_f64 v[56:57], v[248:249], v[56:57]
	v_mul_f64 v[248:249], v[22:23], s[2:3]
	v_fma_f64 v[197:198], v[8:9], s[14:15], v[248:249]
	s_delay_alu instid0(VALU_DEP_1)
	v_add_f64 v[58:59], v[197:198], v[58:59]
	scratch_load_b64 v[197:198], off, off offset:368 ; 8-byte Folded Reload
	s_waitcnt vmcnt(0)
	v_add_f64 v[4:5], v[4:5], v[197:198]
	scratch_load_b64 v[197:198], off, off offset:360 ; 8-byte Folded Reload
	v_add_f64 v[4:5], v[40:41], v[4:5]
	v_fma_f64 v[40:41], v[32:33], s[12:13], -v[44:45]
	s_waitcnt vmcnt(0)
	v_add_f64 v[6:7], v[6:7], v[197:198]
	s_delay_alu instid0(VALU_DEP_1) | instskip(SKIP_1) | instid1(VALU_DEP_1)
	v_add_f64 v[6:7], v[40:41], v[6:7]
	v_fma_f64 v[40:41], v[28:29], s[24:25], v[60:61]
	v_add_f64 v[4:5], v[40:41], v[4:5]
	v_fma_f64 v[40:41], v[24:25], s[24:25], -v[62:63]
	s_delay_alu instid0(VALU_DEP_1) | instskip(SKIP_1) | instid1(VALU_DEP_1)
	v_add_f64 v[6:7], v[40:41], v[6:7]
	v_fma_f64 v[40:41], v[16:17], s[26:27], v[72:73]
	v_add_f64 v[4:5], v[40:41], v[4:5]
	v_fma_f64 v[40:41], v[18:19], s[26:27], -v[74:75]
	;; [unrolled: 5-line block ×3, first 2 shown]
	s_delay_alu instid0(VALU_DEP_2)
	v_add_f64 v[0:1], v[0:1], v[4:5]
	v_fma_f64 v[4:5], v[42:43], s[14:15], v[10:11]
	scratch_load_b64 v[10:11], off, off offset:328 ; 8-byte Folded Reload
	v_add_f64 v[6:7], v[40:41], v[6:7]
	v_add_f64 v[60:61], v[4:5], v[0:1]
	scratch_load_b64 v[4:5], off, off offset:336 ; 8-byte Folded Reload
	v_add_f64 v[2:3], v[2:3], v[6:7]
	v_fma_f64 v[6:7], v[8:9], s[14:15], -v[248:249]
	v_mul_f64 v[0:1], v[80:81], s[46:47]
	s_delay_alu instid0(VALU_DEP_2) | instskip(NEXT) | instid1(VALU_DEP_2)
	v_add_f64 v[62:63], v[6:7], v[2:3]
	v_fma_f64 v[2:3], v[251:252], s[26:27], -v[0:1]
	v_fma_f64 v[0:1], v[251:252], s[26:27], v[0:1]
	s_waitcnt vmcnt(0)
	s_delay_alu instid0(VALU_DEP_2) | instskip(SKIP_1) | instid1(VALU_DEP_1)
	v_add_f64 v[2:3], v[2:3], v[4:5]
	v_mul_f64 v[4:5], v[70:71], s[46:47]
	v_fma_f64 v[6:7], v[253:254], s[26:27], v[4:5]
	s_delay_alu instid0(VALU_DEP_1) | instskip(SKIP_1) | instid1(VALU_DEP_1)
	v_add_f64 v[6:7], v[6:7], v[10:11]
	v_mul_f64 v[10:11], v[68:69], s[16:17]
	v_fma_f64 v[40:41], v[36:37], s[30:31], -v[10:11]
	s_delay_alu instid0(VALU_DEP_1) | instskip(SKIP_2) | instid1(VALU_DEP_2)
	v_add_f64 v[2:3], v[40:41], v[2:3]
	v_mul_f64 v[40:41], v[66:67], s[16:17]
	v_mul_f64 v[66:67], v[22:23], s[56:57]
	v_fma_f64 v[44:45], v[32:33], s[30:31], v[40:41]
	s_delay_alu instid0(VALU_DEP_1) | instskip(SKIP_1) | instid1(VALU_DEP_1)
	v_add_f64 v[6:7], v[44:45], v[6:7]
	v_mul_f64 v[44:45], v[64:65], s[50:51]
	v_fma_f64 v[64:65], v[28:29], s[22:23], -v[44:45]
	s_delay_alu instid0(VALU_DEP_1) | instskip(SKIP_2) | instid1(VALU_DEP_2)
	v_add_f64 v[2:3], v[64:65], v[2:3]
	v_fma_f64 v[64:65], v[24:25], s[22:23], v[52:53]
	v_fma_f64 v[24:25], v[24:25], s[22:23], -v[52:53]
	v_add_f64 v[6:7], v[64:65], v[6:7]
	v_fma_f64 v[64:65], v[16:17], s[24:25], -v[50:51]
	s_delay_alu instid0(VALU_DEP_1) | instskip(SKIP_1) | instid1(VALU_DEP_1)
	v_add_f64 v[2:3], v[64:65], v[2:3]
	v_fma_f64 v[64:65], v[18:19], s[24:25], v[48:49]
	v_add_f64 v[6:7], v[64:65], v[6:7]
	v_fma_f64 v[64:65], v[14:15], s[18:19], -v[46:47]
	s_delay_alu instid0(VALU_DEP_1) | instskip(SKIP_1) | instid1(VALU_DEP_1)
	v_add_f64 v[2:3], v[64:65], v[2:3]
	v_fma_f64 v[64:65], v[26:27], s[18:19], v[38:39]
	;; [unrolled: 5-line block ×3, first 2 shown]
	v_add_f64 v[6:7], v[64:65], v[6:7]
	v_mul_f64 v[64:65], v[20:21], s[56:57]
	s_delay_alu instid0(VALU_DEP_1) | instskip(NEXT) | instid1(VALU_DEP_1)
	v_fma_f64 v[20:21], v[42:43], s[12:13], -v[64:65]
	v_add_f64 v[20:21], v[20:21], v[2:3]
	v_fma_f64 v[2:3], v[8:9], s[12:13], v[66:67]
	v_fma_f64 v[8:9], v[8:9], s[12:13], -v[66:67]
	s_delay_alu instid0(VALU_DEP_2)
	v_add_f64 v[22:23], v[2:3], v[6:7]
	v_fma_f64 v[2:3], v[253:254], s[26:27], -v[4:5]
	v_fma_f64 v[4:5], v[36:37], s[30:31], v[10:11]
	scratch_load_b64 v[10:11], off, off offset:296 ; 8-byte Folded Reload
	v_fma_f64 v[6:7], v[32:33], s[30:31], -v[40:41]
	s_waitcnt vmcnt(0)
	v_add_f64 v[0:1], v[0:1], v[10:11]
	scratch_load_b64 v[10:11], off, off offset:304 ; 8-byte Folded Reload
	v_add_f64 v[0:1], v[4:5], v[0:1]
	v_fma_f64 v[4:5], v[16:17], s[24:25], v[50:51]
	s_waitcnt vmcnt(0)
	v_add_f64 v[2:3], v[2:3], v[10:11]
	v_fma_f64 v[10:11], v[28:29], s[22:23], v[44:45]
	s_delay_alu instid0(VALU_DEP_2) | instskip(SKIP_1) | instid1(VALU_DEP_3)
	v_add_f64 v[2:3], v[6:7], v[2:3]
	v_fma_f64 v[6:7], v[18:19], s[24:25], -v[48:49]
	v_add_f64 v[0:1], v[10:11], v[0:1]
	v_fma_f64 v[10:11], v[14:15], s[18:19], v[46:47]
	v_fma_f64 v[14:15], v[26:27], s[18:19], -v[38:39]
	v_add_f64 v[2:3], v[24:25], v[2:3]
	s_delay_alu instid0(VALU_DEP_4) | instskip(SKIP_1) | instid1(VALU_DEP_3)
	v_add_f64 v[0:1], v[4:5], v[0:1]
	v_fma_f64 v[4:5], v[12:13], s[14:15], v[30:31]
	v_add_f64 v[2:3], v[6:7], v[2:3]
	v_fma_f64 v[6:7], v[34:35], s[14:15], -v[54:55]
	s_delay_alu instid0(VALU_DEP_4) | instskip(SKIP_1) | instid1(VALU_DEP_4)
	v_add_f64 v[0:1], v[10:11], v[0:1]
	v_fma_f64 v[10:11], v[42:43], s[12:13], v[64:65]
	v_add_f64 v[2:3], v[14:15], v[2:3]
	s_delay_alu instid0(VALU_DEP_3) | instskip(NEXT) | instid1(VALU_DEP_2)
	v_add_f64 v[0:1], v[4:5], v[0:1]
	v_add_f64 v[2:3], v[6:7], v[2:3]
	s_clause 0x1
	scratch_load_b64 v[4:5], off, off offset:264
	scratch_load_b64 v[6:7], off, off offset:280
	v_add_f64 v[0:1], v[10:11], v[0:1]
	v_add_f64 v[2:3], v[8:9], v[2:3]
	s_waitcnt vmcnt(0)
	v_add_f64 v[4:5], v[4:5], v[6:7]
	s_clause 0x1
	scratch_load_b64 v[6:7], off, off offset:272
	scratch_load_b64 v[8:9], off, off offset:288
	s_waitcnt vmcnt(0)
	v_add_f64 v[6:7], v[6:7], v[8:9]
	scratch_load_b64 v[8:9], off, off offset:312 ; 8-byte Folded Reload
	s_waitcnt vmcnt(0)
	v_add_f64 v[4:5], v[4:5], v[8:9]
	scratch_load_b64 v[8:9], off, off offset:320 ; 8-byte Folded Reload
	;; [unrolled: 3-line block ×6, first 2 shown]
	v_add_f64 v[4:5], v[4:5], v[82:83]
	s_delay_alu instid0(VALU_DEP_1) | instskip(NEXT) | instid1(VALU_DEP_1)
	v_add_f64 v[4:5], v[4:5], v[203:204]
	v_add_f64 v[4:5], v[4:5], v[207:208]
	s_delay_alu instid0(VALU_DEP_1) | instskip(NEXT) | instid1(VALU_DEP_1)
	v_add_f64 v[4:5], v[4:5], v[211:212]
	;; [unrolled: 3-line block ×3, first 2 shown]
	v_add_f64 v[4:5], v[4:5], v[223:224]
	s_delay_alu instid0(VALU_DEP_1) | instskip(SKIP_2) | instid1(VALU_DEP_2)
	v_add_f64 v[4:5], v[4:5], v[227:228]
	s_waitcnt vmcnt(0)
	v_add_f64 v[6:7], v[6:7], v[8:9]
	v_add_f64 v[4:5], v[4:5], v[195:196]
	s_delay_alu instid0(VALU_DEP_2) | instskip(NEXT) | instid1(VALU_DEP_2)
	v_add_f64 v[6:7], v[6:7], v[201:202]
	v_add_f64 v[4:5], v[4:5], v[191:192]
	s_delay_alu instid0(VALU_DEP_2) | instskip(NEXT) | instid1(VALU_DEP_2)
	v_add_f64 v[6:7], v[6:7], v[205:206]
	v_add_f64 v[4:5], v[4:5], v[241:242]
	s_delay_alu instid0(VALU_DEP_2) | instskip(NEXT) | instid1(VALU_DEP_1)
	v_add_f64 v[6:7], v[6:7], v[209:210]
	v_add_f64 v[6:7], v[6:7], v[213:214]
	s_delay_alu instid0(VALU_DEP_1) | instskip(NEXT) | instid1(VALU_DEP_1)
	v_add_f64 v[6:7], v[6:7], v[217:218]
	v_add_f64 v[6:7], v[6:7], v[221:222]
	s_delay_alu instid0(VALU_DEP_1) | instskip(NEXT) | instid1(VALU_DEP_1)
	;; [unrolled: 3-line block ×3, first 2 shown]
	v_add_f64 v[6:7], v[6:7], v[193:194]
	v_add_f64 v[6:7], v[6:7], v[189:190]
	s_delay_alu instid0(VALU_DEP_1)
	v_add_f64 v[6:7], v[6:7], v[181:182]
	ds_store_b128 v180, v[136:139] offset:272
	ds_store_b128 v180, v[144:147] offset:544
	;; [unrolled: 1-line block ×16, first 2 shown]
	ds_store_b128 v180, v[4:7]
	s_waitcnt lgkmcnt(0)
	s_waitcnt_vscnt null, 0x0
	s_barrier
	buffer_gl0_inv
	global_load_b128 v[0:3], v[187:188], off offset:528
	scratch_load_b32 v60, off, off offset:260 ; 4-byte Folded Reload
	ds_load_b128 v[4:7], v180
	ds_load_b128 v[18:21], v180 offset:2176
	ds_load_b128 v[24:27], v180 offset:2448
	;; [unrolled: 1-line block ×7, first 2 shown]
	s_waitcnt vmcnt(1) lgkmcnt(7)
	v_mul_f64 v[8:9], v[6:7], v[2:3]
	v_mul_f64 v[2:3], v[4:5], v[2:3]
	s_delay_alu instid0(VALU_DEP_2) | instskip(NEXT) | instid1(VALU_DEP_2)
	v_fma_f64 v[132:133], v[4:5], v[0:1], -v[8:9]
	v_fma_f64 v[134:135], v[6:7], v[0:1], v[2:3]
	v_add_co_u32 v0, vcc_lo, 0x1210, v255
	s_waitcnt vmcnt(0)
	v_add_co_ci_u32_e32 v1, vcc_lo, 0, v60, vcc_lo
	ds_load_b128 v[6:9], v180 offset:272
	global_load_b128 v[2:5], v[0:1], off offset:272
	s_waitcnt vmcnt(0) lgkmcnt(0)
	v_mul_f64 v[10:11], v[8:9], v[4:5]
	v_mul_f64 v[4:5], v[6:7], v[4:5]
	s_delay_alu instid0(VALU_DEP_2) | instskip(NEXT) | instid1(VALU_DEP_2)
	v_fma_f64 v[136:137], v[6:7], v[2:3], -v[10:11]
	v_fma_f64 v[138:139], v[8:9], v[2:3], v[4:5]
	global_load_b128 v[2:5], v[0:1], off offset:544
	ds_load_b128 v[6:9], v180 offset:544
	s_waitcnt vmcnt(0) lgkmcnt(0)
	v_mul_f64 v[10:11], v[8:9], v[4:5]
	v_mul_f64 v[4:5], v[6:7], v[4:5]
	s_delay_alu instid0(VALU_DEP_2) | instskip(NEXT) | instid1(VALU_DEP_2)
	v_fma_f64 v[140:141], v[6:7], v[2:3], -v[10:11]
	v_fma_f64 v[142:143], v[8:9], v[2:3], v[4:5]
	global_load_b128 v[2:5], v[0:1], off offset:816
	ds_load_b128 v[6:9], v180 offset:816
	;; [unrolled: 8-line block ×6, first 2 shown]
	s_waitcnt vmcnt(0) lgkmcnt(0)
	v_mul_f64 v[2:3], v[14:15], v[10:11]
	v_mul_f64 v[16:17], v[12:13], v[10:11]
	s_delay_alu instid0(VALU_DEP_2) | instskip(NEXT) | instid1(VALU_DEP_2)
	v_fma_f64 v[10:11], v[12:13], v[8:9], -v[2:3]
	v_fma_f64 v[12:13], v[14:15], v[8:9], v[16:17]
	global_load_b128 v[14:17], v[0:1], off offset:2176
	s_waitcnt vmcnt(0)
	v_mul_f64 v[2:3], v[20:21], v[16:17]
	v_mul_f64 v[8:9], v[18:19], v[16:17]
	s_delay_alu instid0(VALU_DEP_2) | instskip(NEXT) | instid1(VALU_DEP_2)
	v_fma_f64 v[16:17], v[18:19], v[14:15], -v[2:3]
	v_fma_f64 v[18:19], v[20:21], v[14:15], v[8:9]
	global_load_b128 v[20:23], v[0:1], off offset:2448
	s_waitcnt vmcnt(0)
	v_mul_f64 v[2:3], v[26:27], v[22:23]
	v_mul_f64 v[8:9], v[24:25], v[22:23]
	s_delay_alu instid0(VALU_DEP_2) | instskip(NEXT) | instid1(VALU_DEP_2)
	v_fma_f64 v[22:23], v[24:25], v[20:21], -v[2:3]
	v_fma_f64 v[24:25], v[26:27], v[20:21], v[8:9]
	global_load_b128 v[26:29], v[0:1], off offset:2720
	s_waitcnt vmcnt(0)
	v_mul_f64 v[2:3], v[32:33], v[28:29]
	v_mul_f64 v[8:9], v[30:31], v[28:29]
	s_delay_alu instid0(VALU_DEP_2) | instskip(NEXT) | instid1(VALU_DEP_2)
	v_fma_f64 v[28:29], v[30:31], v[26:27], -v[2:3]
	v_fma_f64 v[30:31], v[32:33], v[26:27], v[8:9]
	global_load_b128 v[32:35], v[0:1], off offset:2992
	s_waitcnt vmcnt(0)
	v_mul_f64 v[2:3], v[38:39], v[34:35]
	v_mul_f64 v[8:9], v[36:37], v[34:35]
	s_delay_alu instid0(VALU_DEP_2) | instskip(NEXT) | instid1(VALU_DEP_2)
	v_fma_f64 v[34:35], v[36:37], v[32:33], -v[2:3]
	v_fma_f64 v[36:37], v[38:39], v[32:33], v[8:9]
	global_load_b128 v[38:41], v[0:1], off offset:3264
	s_waitcnt vmcnt(0)
	v_mul_f64 v[2:3], v[44:45], v[40:41]
	v_mul_f64 v[8:9], v[42:43], v[40:41]
	s_delay_alu instid0(VALU_DEP_2) | instskip(NEXT) | instid1(VALU_DEP_2)
	v_fma_f64 v[40:41], v[42:43], v[38:39], -v[2:3]
	v_fma_f64 v[42:43], v[44:45], v[38:39], v[8:9]
	global_load_b128 v[44:47], v[0:1], off offset:3536
	s_waitcnt vmcnt(0)
	v_mul_f64 v[2:3], v[50:51], v[46:47]
	v_mul_f64 v[8:9], v[48:49], v[46:47]
	s_delay_alu instid0(VALU_DEP_2) | instskip(NEXT) | instid1(VALU_DEP_2)
	v_fma_f64 v[46:47], v[48:49], v[44:45], -v[2:3]
	v_fma_f64 v[48:49], v[50:51], v[44:45], v[8:9]
	global_load_b128 v[50:53], v[0:1], off offset:3808
	s_waitcnt vmcnt(0)
	v_mul_f64 v[2:3], v[56:57], v[52:53]
	v_mul_f64 v[8:9], v[54:55], v[52:53]
	s_delay_alu instid0(VALU_DEP_2)
	v_fma_f64 v[52:53], v[54:55], v[50:51], -v[2:3]
	global_load_b128 v[0:3], v[0:1], off offset:4080
	v_fma_f64 v[54:55], v[56:57], v[50:51], v[8:9]
	ds_load_b128 v[56:59], v180 offset:4080
	s_waitcnt vmcnt(0) lgkmcnt(0)
	v_mul_f64 v[8:9], v[58:59], v[2:3]
	v_mul_f64 v[2:3], v[56:57], v[2:3]
	s_delay_alu instid0(VALU_DEP_2) | instskip(NEXT) | instid1(VALU_DEP_2)
	v_fma_f64 v[56:57], v[56:57], v[0:1], -v[8:9]
	v_fma_f64 v[58:59], v[58:59], v[0:1], v[2:3]
	v_add_co_u32 v0, vcc_lo, 0x2000, v255
	v_add_co_ci_u32_e32 v1, vcc_lo, 0, v60, vcc_lo
	ds_load_b128 v[60:63], v180 offset:4352
	global_load_b128 v[0:3], v[0:1], off offset:784
	s_waitcnt vmcnt(0) lgkmcnt(0)
	v_mul_f64 v[8:9], v[62:63], v[2:3]
	v_mul_f64 v[2:3], v[60:61], v[2:3]
	s_delay_alu instid0(VALU_DEP_2) | instskip(NEXT) | instid1(VALU_DEP_2)
	v_fma_f64 v[60:61], v[60:61], v[0:1], -v[8:9]
	v_fma_f64 v[62:63], v[62:63], v[0:1], v[2:3]
	ds_store_b128 v180, v[132:135]
	ds_store_b128 v180, v[136:139] offset:272
	ds_store_b128 v180, v[140:143] offset:544
	;; [unrolled: 1-line block ×16, first 2 shown]
	s_waitcnt lgkmcnt(0)
	s_barrier
	buffer_gl0_inv
	ds_load_b128 v[132:135], v180
	ds_load_b128 v[136:139], v180 offset:272
	ds_load_b128 v[140:143], v180 offset:544
	;; [unrolled: 1-line block ×10, first 2 shown]
	s_waitcnt lgkmcnt(9)
	v_add_f64 v[0:1], v[132:133], v[136:137]
	v_add_f64 v[2:3], v[134:135], v[138:139]
	s_waitcnt lgkmcnt(1)
	v_add_f64 v[181:182], v[166:167], v[170:171]
	s_waitcnt lgkmcnt(0)
	v_add_f64 v[28:29], v[162:163], v[10:11]
	v_add_f64 v[30:31], v[162:163], -v[10:11]
	v_add_f64 v[187:188], v[166:167], -v[170:171]
	v_add_f64 v[0:1], v[0:1], v[140:141]
	v_add_f64 v[2:3], v[2:3], v[142:143]
	v_mul_f64 v[215:216], v[28:29], s[30:31]
	v_mul_f64 v[213:214], v[30:31], s[16:17]
	s_delay_alu instid0(VALU_DEP_4) | instskip(NEXT) | instid1(VALU_DEP_4)
	v_add_f64 v[0:1], v[0:1], v[144:145]
	v_add_f64 v[2:3], v[2:3], v[146:147]
	s_delay_alu instid0(VALU_DEP_2) | instskip(NEXT) | instid1(VALU_DEP_2)
	v_add_f64 v[0:1], v[0:1], v[148:149]
	v_add_f64 v[2:3], v[2:3], v[150:151]
	s_delay_alu instid0(VALU_DEP_2) | instskip(NEXT) | instid1(VALU_DEP_2)
	v_add_f64 v[0:1], v[0:1], v[152:153]
	v_add_f64 v[2:3], v[2:3], v[154:155]
	s_delay_alu instid0(VALU_DEP_2) | instskip(NEXT) | instid1(VALU_DEP_2)
	v_add_f64 v[0:1], v[0:1], v[156:157]
	v_add_f64 v[2:3], v[2:3], v[158:159]
	s_delay_alu instid0(VALU_DEP_2) | instskip(NEXT) | instid1(VALU_DEP_2)
	v_add_f64 v[0:1], v[0:1], v[160:161]
	v_add_f64 v[2:3], v[2:3], v[162:163]
	s_delay_alu instid0(VALU_DEP_2) | instskip(NEXT) | instid1(VALU_DEP_2)
	v_add_f64 v[4:5], v[0:1], v[164:165]
	v_add_f64 v[6:7], v[2:3], v[166:167]
	v_add_f64 v[0:1], v[164:165], v[168:169]
	v_add_f64 v[2:3], v[164:165], -v[168:169]
	s_delay_alu instid0(VALU_DEP_4) | instskip(NEXT) | instid1(VALU_DEP_4)
	v_add_f64 v[12:13], v[4:5], v[168:169]
	v_add_f64 v[14:15], v[6:7], v[170:171]
	;; [unrolled: 1-line block ×3, first 2 shown]
	v_add_f64 v[6:7], v[160:161], -v[8:9]
	s_delay_alu instid0(VALU_DEP_4) | instskip(NEXT) | instid1(VALU_DEP_4)
	v_add_f64 v[16:17], v[12:13], v[8:9]
	v_add_f64 v[18:19], v[14:15], v[10:11]
	ds_load_b128 v[12:15], v180 offset:2992
	s_waitcnt lgkmcnt(0)
	v_add_f64 v[8:9], v[156:157], v[12:13]
	v_add_f64 v[199:200], v[158:159], v[14:15]
	v_add_f64 v[10:11], v[156:157], -v[12:13]
	v_add_f64 v[209:210], v[158:159], -v[14:15]
	v_add_f64 v[20:21], v[16:17], v[12:13]
	v_add_f64 v[22:23], v[18:19], v[14:15]
	ds_load_b128 v[16:19], v180 offset:3264
	s_waitcnt lgkmcnt(0)
	v_add_f64 v[12:13], v[152:153], v[16:17]
	v_add_f64 v[217:218], v[154:155], v[18:19]
	v_add_f64 v[14:15], v[152:153], -v[16:17]
	v_add_f64 v[219:220], v[154:155], -v[18:19]
	v_mul_f64 v[207:208], v[209:210], s[8:9]
	v_mul_f64 v[211:212], v[199:200], s[24:25]
	v_add_f64 v[24:25], v[20:21], v[16:17]
	v_add_f64 v[26:27], v[22:23], v[18:19]
	ds_load_b128 v[20:23], v180 offset:3536
	s_waitcnt lgkmcnt(0)
	v_add_f64 v[16:17], v[148:149], v[20:21]
	v_add_f64 v[221:222], v[150:151], v[22:23]
	v_add_f64 v[18:19], v[148:149], -v[20:21]
	v_add_f64 v[32:33], v[150:151], -v[22:23]
	v_mul_f64 v[203:204], v[219:220], s[2:3]
	v_mul_f64 v[205:206], v[217:218], s[14:15]
	;; [unrolled: 10-line block ×4, first 2 shown]
	v_add_f64 v[40:41], v[40:41], v[36:37]
	v_add_f64 v[42:43], v[42:43], v[38:39]
	ds_load_b128 v[36:39], v180 offset:4352
	s_waitcnt lgkmcnt(0)
	s_barrier
	buffer_gl0_inv
	v_add_f64 v[44:45], v[138:139], -v[38:39]
	v_add_f64 v[46:47], v[136:137], v[36:37]
	v_add_f64 v[48:49], v[138:139], v[38:39]
	v_add_f64 v[50:51], v[136:137], -v[36:37]
	v_mul_f64 v[189:190], v[227:228], s[34:35]
	v_mul_f64 v[191:192], v[225:226], s[22:23]
	v_add_f64 v[136:137], v[40:41], v[36:37]
	v_add_f64 v[138:139], v[42:43], v[38:39]
	v_mul_f64 v[36:37], v[44:45], s[36:37]
	v_mul_f64 v[38:39], v[44:45], s[34:35]
	;; [unrolled: 1-line block ×11, first 2 shown]
	v_fma_f64 v[58:59], v[46:47], s[26:27], v[36:37]
	v_fma_f64 v[36:37], v[46:47], s[26:27], -v[36:37]
	v_fma_f64 v[60:61], v[46:47], s[22:23], v[38:39]
	v_fma_f64 v[38:39], v[46:47], s[22:23], -v[38:39]
	;; [unrolled: 2-line block ×3, first 2 shown]
	v_fma_f64 v[78:79], v[46:47], s[30:31], -v[56:57]
	v_fma_f64 v[80:81], v[46:47], s[40:41], v[44:45]
	v_fma_f64 v[82:83], v[46:47], s[40:41], -v[44:45]
	v_mul_f64 v[44:45], v[48:49], s[26:27]
	v_fma_f64 v[150:151], v[50:51], s[44:45], v[66:67]
	v_fma_f64 v[152:153], v[50:51], s[2:3], v[66:67]
	v_fma_f64 v[62:63], v[46:47], s[18:19], v[40:41]
	v_fma_f64 v[40:41], v[46:47], s[18:19], -v[40:41]
	v_fma_f64 v[70:71], v[46:47], s[14:15], v[52:53]
	v_fma_f64 v[52:53], v[46:47], s[14:15], -v[52:53]
	v_fma_f64 v[72:73], v[46:47], s[24:25], v[54:55]
	;; [unrolled: 2-line block ×3, first 2 shown]
	v_mul_f64 v[46:47], v[48:49], s[22:23]
	v_mul_f64 v[54:55], v[48:49], s[18:19]
	v_mul_f64 v[56:57], v[48:49], s[12:13]
	v_mul_f64 v[48:49], v[48:49], s[40:41]
	v_fma_f64 v[154:155], v[50:51], s[54:55], v[68:69]
	v_fma_f64 v[158:159], v[50:51], s[8:9], v[68:69]
	;; [unrolled: 1-line block ×4, first 2 shown]
	v_add_f64 v[166:167], v[132:133], v[58:59]
	v_add_f64 v[66:67], v[132:133], v[36:37]
	v_fma_f64 v[36:37], v[24:25], s[22:23], v[189:190]
	v_add_f64 v[170:171], v[132:133], v[38:39]
	v_add_f64 v[248:249], v[132:133], v[64:65]
	v_add_f64 v[64:65], v[132:133], v[42:43]
	v_add_f64 v[42:43], v[132:133], v[78:79]
	v_fma_f64 v[38:39], v[26:27], s[50:51], v[191:192]
	v_fma_f64 v[78:79], v[20:21], s[18:19], v[193:194]
	v_fma_f64 v[142:143], v[50:51], s[46:47], v[44:45]
	v_fma_f64 v[44:45], v[50:51], s[36:37], v[44:45]
	v_add_f64 v[168:169], v[132:133], v[60:61]
	v_add_f64 v[174:175], v[132:133], v[62:63]
	;; [unrolled: 1-line block ×6, first 2 shown]
	v_mul_f64 v[150:151], v[32:33], s[38:39]
	v_fma_f64 v[144:145], v[50:51], s[50:51], v[46:47]
	v_fma_f64 v[46:47], v[50:51], s[34:35], v[46:47]
	;; [unrolled: 1-line block ×8, first 2 shown]
	v_add_f64 v[50:51], v[132:133], v[74:75]
	v_add_f64 v[52:53], v[134:135], v[154:155]
	;; [unrolled: 1-line block ×4, first 2 shown]
	v_mul_f64 v[154:155], v[219:220], s[48:49]
	v_mul_f64 v[158:159], v[217:218], s[30:31]
	v_add_f64 v[36:37], v[36:37], v[166:167]
	v_mul_f64 v[166:167], v[28:29], s[18:19]
	v_add_f64 v[142:143], v[134:135], v[142:143]
	v_add_f64 v[68:69], v[134:135], v[44:45]
	;; [unrolled: 1-line block ×3, first 2 shown]
	v_mul_f64 v[160:161], v[209:210], s[44:45]
	v_add_f64 v[144:145], v[134:135], v[144:145]
	v_add_f64 v[172:173], v[134:135], v[46:47]
	;; [unrolled: 1-line block ×13, first 2 shown]
	v_mul_f64 v[82:83], v[225:226], s[12:13]
	v_mul_f64 v[148:149], v[34:35], s[24:25]
	;; [unrolled: 1-line block ×5, first 2 shown]
	v_add_f64 v[36:37], v[78:79], v[36:37]
	v_fma_f64 v[78:79], v[22:23], s[42:43], v[195:196]
	v_add_f64 v[38:39], v[38:39], v[142:143]
	v_mul_f64 v[142:143], v[223:224], s[8:9]
	v_fma_f64 v[140:141], v[26:27], s[56:57], v[82:83]
	v_fma_f64 v[82:83], v[26:27], s[20:21], v[82:83]
	s_delay_alu instid0(VALU_DEP_4) | instskip(SKIP_1) | instid1(VALU_DEP_4)
	v_add_f64 v[38:39], v[78:79], v[38:39]
	v_fma_f64 v[78:79], v[16:17], s[12:13], v[197:198]
	v_add_f64 v[140:141], v[140:141], v[144:145]
	v_fma_f64 v[144:145], v[20:21], s[24:25], v[142:143]
	v_add_f64 v[82:83], v[82:83], v[172:173]
	v_mul_f64 v[172:173], v[30:31], s[20:21]
	v_add_f64 v[36:37], v[78:79], v[36:37]
	v_fma_f64 v[78:79], v[18:19], s[56:57], v[201:202]
	s_delay_alu instid0(VALU_DEP_1) | instskip(SKIP_1) | instid1(VALU_DEP_1)
	v_add_f64 v[38:39], v[78:79], v[38:39]
	v_fma_f64 v[78:79], v[12:13], s[14:15], v[203:204]
	v_add_f64 v[36:37], v[78:79], v[36:37]
	v_fma_f64 v[78:79], v[14:15], s[44:45], v[205:206]
	s_delay_alu instid0(VALU_DEP_1) | instskip(SKIP_1) | instid1(VALU_DEP_1)
	v_add_f64 v[38:39], v[78:79], v[38:39]
	v_fma_f64 v[78:79], v[8:9], s[24:25], v[207:208]
	;; [unrolled: 5-line block ×3, first 2 shown]
	v_add_f64 v[78:79], v[78:79], v[36:37]
	v_fma_f64 v[36:37], v[6:7], s[48:49], v[215:216]
	s_delay_alu instid0(VALU_DEP_1) | instskip(SKIP_1) | instid1(VALU_DEP_1)
	v_add_f64 v[80:81], v[36:37], v[38:39]
	v_mul_f64 v[36:37], v[187:188], s[38:39]
	v_fma_f64 v[38:39], v[0:1], s[40:41], v[36:37]
	s_delay_alu instid0(VALU_DEP_1) | instskip(SKIP_1) | instid1(VALU_DEP_1)
	v_add_f64 v[132:133], v[38:39], v[78:79]
	v_mul_f64 v[38:39], v[181:182], s[40:41]
	v_fma_f64 v[78:79], v[2:3], s[52:53], v[38:39]
	s_delay_alu instid0(VALU_DEP_1) | instskip(SKIP_1) | instid1(VALU_DEP_1)
	v_add_f64 v[134:135], v[78:79], v[80:81]
	v_mul_f64 v[78:79], v[227:228], s[20:21]
	v_fma_f64 v[80:81], v[24:25], s[12:13], v[78:79]
	v_fma_f64 v[78:79], v[24:25], s[12:13], -v[78:79]
	s_delay_alu instid0(VALU_DEP_2) | instskip(SKIP_1) | instid1(VALU_DEP_3)
	v_add_f64 v[80:81], v[80:81], v[168:169]
	v_mul_f64 v[168:169], v[187:188], s[46:47]
	v_add_f64 v[78:79], v[78:79], v[170:171]
	v_mul_f64 v[170:171], v[199:200], s[26:27]
	s_delay_alu instid0(VALU_DEP_4) | instskip(SKIP_1) | instid1(VALU_DEP_1)
	v_add_f64 v[80:81], v[144:145], v[80:81]
	v_fma_f64 v[144:145], v[22:23], s[54:55], v[148:149]
	v_add_f64 v[140:141], v[144:145], v[140:141]
	v_fma_f64 v[144:145], v[16:17], s[40:41], v[150:151]
	s_delay_alu instid0(VALU_DEP_1) | instskip(SKIP_1) | instid1(VALU_DEP_1)
	v_add_f64 v[80:81], v[144:145], v[80:81]
	v_fma_f64 v[144:145], v[18:19], s[52:53], v[152:153]
	v_add_f64 v[140:141], v[144:145], v[140:141]
	v_fma_f64 v[144:145], v[12:13], s[30:31], v[154:155]
	s_delay_alu instid0(VALU_DEP_1) | instskip(SKIP_1) | instid1(VALU_DEP_1)
	;; [unrolled: 5-line block ×5, first 2 shown]
	v_add_f64 v[144:145], v[144:145], v[80:81]
	v_mul_f64 v[80:81], v[181:182], s[26:27]
	v_fma_f64 v[146:147], v[2:3], s[36:37], v[80:81]
	v_fma_f64 v[80:81], v[2:3], s[46:47], v[80:81]
	s_delay_alu instid0(VALU_DEP_2) | instskip(SKIP_1) | instid1(VALU_DEP_1)
	v_add_f64 v[146:147], v[146:147], v[140:141]
	v_fma_f64 v[140:141], v[20:21], s[24:25], -v[142:143]
	v_add_f64 v[78:79], v[140:141], v[78:79]
	v_fma_f64 v[140:141], v[22:23], s[8:9], v[148:149]
	s_delay_alu instid0(VALU_DEP_1) | instskip(SKIP_2) | instid1(VALU_DEP_2)
	v_add_f64 v[82:83], v[140:141], v[82:83]
	v_fma_f64 v[140:141], v[16:17], s[40:41], -v[150:151]
	v_mul_f64 v[150:151], v[223:224], s[52:53]
	v_add_f64 v[78:79], v[140:141], v[78:79]
	v_fma_f64 v[140:141], v[18:19], s[38:39], v[152:153]
	s_delay_alu instid0(VALU_DEP_3) | instskip(NEXT) | instid1(VALU_DEP_2)
	v_fma_f64 v[152:153], v[20:21], s[40:41], v[150:151]
	v_add_f64 v[82:83], v[140:141], v[82:83]
	v_fma_f64 v[140:141], v[12:13], s[30:31], -v[154:155]
	s_delay_alu instid0(VALU_DEP_1) | instskip(SKIP_2) | instid1(VALU_DEP_2)
	v_add_f64 v[78:79], v[140:141], v[78:79]
	v_fma_f64 v[140:141], v[14:15], s[48:49], v[158:159]
	v_mul_f64 v[158:159], v[34:35], s[40:41]
	v_add_f64 v[82:83], v[140:141], v[82:83]
	v_fma_f64 v[140:141], v[8:9], s[14:15], -v[160:161]
	v_mul_f64 v[160:161], v[32:33], s[44:45]
	s_delay_alu instid0(VALU_DEP_2) | instskip(SKIP_2) | instid1(VALU_DEP_2)
	v_add_f64 v[78:79], v[140:141], v[78:79]
	v_fma_f64 v[140:141], v[10:11], s[44:45], v[162:163]
	v_mul_f64 v[162:163], v[221:222], s[14:15]
	v_add_f64 v[82:83], v[140:141], v[82:83]
	v_fma_f64 v[140:141], v[4:5], s[18:19], -v[164:165]
	v_mul_f64 v[164:165], v[219:220], s[50:51]
	s_delay_alu instid0(VALU_DEP_2) | instskip(SKIP_2) | instid1(VALU_DEP_2)
	v_add_f64 v[78:79], v[140:141], v[78:79]
	v_fma_f64 v[140:141], v[6:7], s[42:43], v[166:167]
	v_mul_f64 v[166:167], v[217:218], s[22:23]
	v_add_f64 v[82:83], v[140:141], v[82:83]
	v_fma_f64 v[140:141], v[0:1], s[26:27], -v[168:169]
	v_mul_f64 v[168:169], v[209:210], s[36:37]
	s_delay_alu instid0(VALU_DEP_3) | instskip(NEXT) | instid1(VALU_DEP_3)
	v_add_f64 v[142:143], v[80:81], v[82:83]
	v_add_f64 v[140:141], v[140:141], v[78:79]
	v_mul_f64 v[78:79], v[227:228], s[8:9]
	v_mul_f64 v[82:83], v[225:226], s[24:25]
	s_delay_alu instid0(VALU_DEP_2) | instskip(NEXT) | instid1(VALU_DEP_2)
	v_fma_f64 v[80:81], v[24:25], s[24:25], v[78:79]
	v_fma_f64 v[148:149], v[26:27], s[54:55], v[82:83]
	v_fma_f64 v[78:79], v[24:25], s[24:25], -v[78:79]
	v_fma_f64 v[82:83], v[26:27], s[8:9], v[82:83]
	s_delay_alu instid0(VALU_DEP_4) | instskip(NEXT) | instid1(VALU_DEP_4)
	v_add_f64 v[80:81], v[80:81], v[174:175]
	v_add_f64 v[148:149], v[148:149], v[176:177]
	v_mul_f64 v[174:175], v[28:29], s[12:13]
	v_mul_f64 v[176:177], v[187:188], s[16:17]
	v_add_f64 v[78:79], v[78:79], v[178:179]
	v_add_f64 v[82:83], v[82:83], v[241:242]
	v_mul_f64 v[178:179], v[199:200], s[30:31]
	v_mul_f64 v[241:242], v[30:31], s[54:55]
	v_add_f64 v[80:81], v[152:153], v[80:81]
	v_fma_f64 v[152:153], v[22:23], s[38:39], v[158:159]
	s_delay_alu instid0(VALU_DEP_1) | instskip(SKIP_1) | instid1(VALU_DEP_1)
	v_add_f64 v[148:149], v[152:153], v[148:149]
	v_fma_f64 v[152:153], v[16:17], s[14:15], v[160:161]
	v_add_f64 v[80:81], v[152:153], v[80:81]
	v_fma_f64 v[152:153], v[18:19], s[2:3], v[162:163]
	s_delay_alu instid0(VALU_DEP_1) | instskip(SKIP_1) | instid1(VALU_DEP_1)
	v_add_f64 v[148:149], v[152:153], v[148:149]
	v_fma_f64 v[152:153], v[12:13], s[22:23], v[164:165]
	;; [unrolled: 5-line block ×5, first 2 shown]
	v_add_f64 v[152:153], v[152:153], v[80:81]
	v_mul_f64 v[80:81], v[181:182], s[30:31]
	s_delay_alu instid0(VALU_DEP_1) | instskip(SKIP_1) | instid1(VALU_DEP_2)
	v_fma_f64 v[154:155], v[2:3], s[48:49], v[80:81]
	v_fma_f64 v[80:81], v[2:3], s[16:17], v[80:81]
	v_add_f64 v[154:155], v[154:155], v[148:149]
	v_fma_f64 v[148:149], v[20:21], s[40:41], -v[150:151]
	s_delay_alu instid0(VALU_DEP_1) | instskip(SKIP_1) | instid1(VALU_DEP_1)
	v_add_f64 v[78:79], v[148:149], v[78:79]
	v_fma_f64 v[148:149], v[22:23], s[52:53], v[158:159]
	v_add_f64 v[82:83], v[148:149], v[82:83]
	v_fma_f64 v[148:149], v[16:17], s[14:15], -v[160:161]
	s_delay_alu instid0(VALU_DEP_1) | instskip(SKIP_1) | instid1(VALU_DEP_1)
	v_add_f64 v[78:79], v[148:149], v[78:79]
	v_fma_f64 v[148:149], v[18:19], s[44:45], v[162:163]
	v_add_f64 v[82:83], v[148:149], v[82:83]
	v_fma_f64 v[148:149], v[12:13], s[22:23], -v[164:165]
	v_mul_f64 v[164:165], v[223:224], s[44:45]
	s_delay_alu instid0(VALU_DEP_2) | instskip(SKIP_1) | instid1(VALU_DEP_3)
	v_add_f64 v[78:79], v[148:149], v[78:79]
	v_fma_f64 v[148:149], v[14:15], s[50:51], v[166:167]
	v_fma_f64 v[160:161], v[20:21], s[14:15], v[164:165]
	v_mul_f64 v[166:167], v[34:35], s[14:15]
	s_delay_alu instid0(VALU_DEP_3) | instskip(SKIP_2) | instid1(VALU_DEP_2)
	v_add_f64 v[82:83], v[148:149], v[82:83]
	v_fma_f64 v[148:149], v[8:9], s[26:27], -v[168:169]
	v_mul_f64 v[168:169], v[32:33], s[46:47]
	v_add_f64 v[78:79], v[148:149], v[78:79]
	v_fma_f64 v[148:149], v[10:11], s[36:37], v[170:171]
	v_mul_f64 v[170:171], v[221:222], s[26:27]
	s_delay_alu instid0(VALU_DEP_2) | instskip(SKIP_2) | instid1(VALU_DEP_2)
	v_add_f64 v[82:83], v[148:149], v[82:83]
	v_fma_f64 v[148:149], v[4:5], s[12:13], -v[172:173]
	v_mul_f64 v[172:173], v[219:220], s[28:29]
	v_add_f64 v[78:79], v[148:149], v[78:79]
	v_fma_f64 v[148:149], v[6:7], s[20:21], v[174:175]
	v_mul_f64 v[174:175], v[217:218], s[18:19]
	s_delay_alu instid0(VALU_DEP_2) | instskip(SKIP_2) | instid1(VALU_DEP_3)
	v_add_f64 v[82:83], v[148:149], v[82:83]
	v_fma_f64 v[148:149], v[0:1], s[30:31], -v[176:177]
	v_mul_f64 v[176:177], v[209:210], s[16:17]
	v_add_f64 v[150:151], v[80:81], v[82:83]
	s_delay_alu instid0(VALU_DEP_3) | instskip(SKIP_2) | instid1(VALU_DEP_2)
	v_add_f64 v[148:149], v[148:149], v[78:79]
	v_mul_f64 v[78:79], v[227:228], s[38:39]
	v_mul_f64 v[82:83], v[225:226], s[40:41]
	v_fma_f64 v[80:81], v[24:25], s[40:41], v[78:79]
	s_delay_alu instid0(VALU_DEP_2) | instskip(SKIP_1) | instid1(VALU_DEP_3)
	v_fma_f64 v[158:159], v[26:27], s[52:53], v[82:83]
	v_fma_f64 v[78:79], v[24:25], s[40:41], -v[78:79]
	v_add_f64 v[80:81], v[80:81], v[248:249]
	s_delay_alu instid0(VALU_DEP_3) | instskip(NEXT) | instid1(VALU_DEP_3)
	v_add_f64 v[158:159], v[158:159], v[251:252]
	v_add_f64 v[64:65], v[78:79], v[64:65]
	v_fma_f64 v[78:79], v[26:27], s[38:39], v[82:83]
	v_fma_f64 v[82:83], v[20:21], s[14:15], -v[164:165]
	v_mul_f64 v[248:249], v[28:29], s[24:25]
	v_mul_f64 v[251:252], v[187:188], s[50:51]
	v_add_f64 v[80:81], v[160:161], v[80:81]
	v_fma_f64 v[160:161], v[22:23], s[2:3], v[166:167]
	v_add_f64 v[78:79], v[78:79], v[156:157]
	v_add_f64 v[64:65], v[82:83], v[64:65]
	v_fma_f64 v[82:83], v[22:23], s[44:45], v[166:167]
	s_delay_alu instid0(VALU_DEP_4) | instskip(SKIP_1) | instid1(VALU_DEP_3)
	v_add_f64 v[158:159], v[160:161], v[158:159]
	v_fma_f64 v[160:161], v[16:17], s[26:27], v[168:169]
	v_add_f64 v[78:79], v[82:83], v[78:79]
	v_fma_f64 v[82:83], v[16:17], s[26:27], -v[168:169]
	s_delay_alu instid0(VALU_DEP_3) | instskip(SKIP_1) | instid1(VALU_DEP_3)
	v_add_f64 v[80:81], v[160:161], v[80:81]
	v_fma_f64 v[160:161], v[18:19], s[36:37], v[170:171]
	v_add_f64 v[64:65], v[82:83], v[64:65]
	v_fma_f64 v[82:83], v[18:19], s[46:47], v[170:171]
	s_delay_alu instid0(VALU_DEP_3) | instskip(SKIP_1) | instid1(VALU_DEP_3)
	v_add_f64 v[158:159], v[160:161], v[158:159]
	v_fma_f64 v[160:161], v[12:13], s[18:19], v[172:173]
	v_add_f64 v[78:79], v[82:83], v[78:79]
	v_fma_f64 v[82:83], v[12:13], s[18:19], -v[172:173]
	v_mul_f64 v[172:173], v[219:220], s[38:39]
	s_delay_alu instid0(VALU_DEP_4) | instskip(SKIP_1) | instid1(VALU_DEP_4)
	v_add_f64 v[80:81], v[160:161], v[80:81]
	v_fma_f64 v[160:161], v[14:15], s[42:43], v[174:175]
	v_add_f64 v[64:65], v[82:83], v[64:65]
	v_fma_f64 v[82:83], v[14:15], s[28:29], v[174:175]
	v_mul_f64 v[174:175], v[217:218], s[40:41]
	s_delay_alu instid0(VALU_DEP_4) | instskip(SKIP_1) | instid1(VALU_DEP_4)
	v_add_f64 v[158:159], v[160:161], v[158:159]
	v_fma_f64 v[160:161], v[8:9], s[30:31], v[176:177]
	v_add_f64 v[78:79], v[82:83], v[78:79]
	v_fma_f64 v[82:83], v[8:9], s[30:31], -v[176:177]
	v_mul_f64 v[176:177], v[209:210], s[56:57]
	s_delay_alu instid0(VALU_DEP_4) | instskip(SKIP_1) | instid1(VALU_DEP_4)
	v_add_f64 v[80:81], v[160:161], v[80:81]
	v_fma_f64 v[160:161], v[10:11], s[48:49], v[178:179]
	v_add_f64 v[64:65], v[82:83], v[64:65]
	v_fma_f64 v[82:83], v[10:11], s[16:17], v[178:179]
	v_mul_f64 v[178:179], v[199:200], s[12:13]
	s_delay_alu instid0(VALU_DEP_4) | instskip(SKIP_1) | instid1(VALU_DEP_4)
	v_add_f64 v[158:159], v[160:161], v[158:159]
	v_fma_f64 v[160:161], v[4:5], s[24:25], v[241:242]
	v_add_f64 v[78:79], v[82:83], v[78:79]
	v_fma_f64 v[82:83], v[4:5], s[24:25], -v[241:242]
	v_mul_f64 v[241:242], v[30:31], s[36:37]
	s_delay_alu instid0(VALU_DEP_4) | instskip(SKIP_1) | instid1(VALU_DEP_4)
	v_add_f64 v[80:81], v[160:161], v[80:81]
	v_fma_f64 v[160:161], v[6:7], s[8:9], v[248:249]
	v_add_f64 v[64:65], v[82:83], v[64:65]
	v_fma_f64 v[82:83], v[6:7], s[54:55], v[248:249]
	v_mul_f64 v[248:249], v[28:29], s[26:27]
	s_delay_alu instid0(VALU_DEP_4) | instskip(SKIP_1) | instid1(VALU_DEP_4)
	v_add_f64 v[158:159], v[160:161], v[158:159]
	v_fma_f64 v[160:161], v[0:1], s[22:23], v[251:252]
	v_add_f64 v[78:79], v[82:83], v[78:79]
	v_fma_f64 v[82:83], v[0:1], s[22:23], -v[251:252]
	v_mul_f64 v[251:252], v[187:188], s[8:9]
	s_delay_alu instid0(VALU_DEP_4) | instskip(SKIP_1) | instid1(VALU_DEP_4)
	v_add_f64 v[160:161], v[160:161], v[80:81]
	v_mul_f64 v[80:81], v[181:182], s[22:23]
	v_add_f64 v[156:157], v[82:83], v[64:65]
	v_mul_f64 v[64:65], v[227:228], s[48:49]
	s_delay_alu instid0(VALU_DEP_3) | instskip(SKIP_1) | instid1(VALU_DEP_2)
	v_fma_f64 v[162:163], v[2:3], s[34:35], v[80:81]
	v_fma_f64 v[80:81], v[2:3], s[50:51], v[80:81]
	v_add_f64 v[162:163], v[162:163], v[158:159]
	s_delay_alu instid0(VALU_DEP_2) | instskip(SKIP_1) | instid1(VALU_DEP_1)
	v_add_f64 v[158:159], v[80:81], v[78:79]
	v_fma_f64 v[78:79], v[24:25], s[30:31], v[64:65]
	v_add_f64 v[62:63], v[78:79], v[62:63]
	v_mul_f64 v[78:79], v[225:226], s[30:31]
	s_delay_alu instid0(VALU_DEP_1) | instskip(NEXT) | instid1(VALU_DEP_1)
	v_fma_f64 v[80:81], v[26:27], s[16:17], v[78:79]
	v_add_f64 v[60:61], v[80:81], v[60:61]
	v_mul_f64 v[80:81], v[223:224], s[50:51]
	s_delay_alu instid0(VALU_DEP_1) | instskip(NEXT) | instid1(VALU_DEP_1)
	;; [unrolled: 4-line block ×5, first 2 shown]
	v_fma_f64 v[168:169], v[18:19], s[42:43], v[166:167]
	v_add_f64 v[60:61], v[168:169], v[60:61]
	v_fma_f64 v[168:169], v[12:13], s[40:41], v[172:173]
	s_delay_alu instid0(VALU_DEP_1) | instskip(SKIP_1) | instid1(VALU_DEP_1)
	v_add_f64 v[62:63], v[168:169], v[62:63]
	v_fma_f64 v[168:169], v[14:15], s[52:53], v[174:175]
	v_add_f64 v[60:61], v[168:169], v[60:61]
	v_fma_f64 v[168:169], v[8:9], s[12:13], v[176:177]
	s_delay_alu instid0(VALU_DEP_1) | instskip(SKIP_1) | instid1(VALU_DEP_1)
	v_add_f64 v[62:63], v[168:169], v[62:63]
	;; [unrolled: 5-line block ×4, first 2 shown]
	v_mul_f64 v[62:63], v[181:182], s[24:25]
	v_fma_f64 v[170:171], v[2:3], s[54:55], v[62:63]
	v_fma_f64 v[62:63], v[2:3], s[8:9], v[62:63]
	s_delay_alu instid0(VALU_DEP_2) | instskip(SKIP_1) | instid1(VALU_DEP_1)
	v_add_f64 v[170:171], v[170:171], v[60:61]
	v_fma_f64 v[60:61], v[24:25], s[30:31], -v[64:65]
	v_add_f64 v[58:59], v[60:61], v[58:59]
	v_fma_f64 v[60:61], v[26:27], s[48:49], v[78:79]
	s_delay_alu instid0(VALU_DEP_1) | instskip(SKIP_1) | instid1(VALU_DEP_1)
	v_add_f64 v[56:57], v[60:61], v[56:57]
	v_fma_f64 v[60:61], v[20:21], s[22:23], -v[80:81]
	v_add_f64 v[58:59], v[60:61], v[58:59]
	v_fma_f64 v[60:61], v[22:23], s[50:51], v[82:83]
	s_delay_alu instid0(VALU_DEP_1) | instskip(SKIP_1) | instid1(VALU_DEP_1)
	;; [unrolled: 5-line block ×3, first 2 shown]
	v_add_f64 v[56:57], v[60:61], v[56:57]
	v_fma_f64 v[60:61], v[12:13], s[40:41], -v[172:173]
	v_add_f64 v[58:59], v[60:61], v[58:59]
	v_fma_f64 v[60:61], v[14:15], s[38:39], v[174:175]
	s_delay_alu instid0(VALU_DEP_1) | instskip(SKIP_2) | instid1(VALU_DEP_2)
	v_add_f64 v[56:57], v[60:61], v[56:57]
	v_fma_f64 v[60:61], v[8:9], s[12:13], -v[176:177]
	v_mul_f64 v[176:177], v[209:210], s[34:35]
	v_add_f64 v[58:59], v[60:61], v[58:59]
	v_fma_f64 v[60:61], v[10:11], s[56:57], v[178:179]
	v_mul_f64 v[178:179], v[199:200], s[22:23]
	s_delay_alu instid0(VALU_DEP_2) | instskip(SKIP_2) | instid1(VALU_DEP_2)
	v_add_f64 v[56:57], v[60:61], v[56:57]
	v_fma_f64 v[60:61], v[4:5], s[26:27], -v[241:242]
	v_mul_f64 v[241:242], v[30:31], s[38:39]
	v_add_f64 v[58:59], v[60:61], v[58:59]
	v_fma_f64 v[60:61], v[6:7], s[36:37], v[248:249]
	v_mul_f64 v[248:249], v[28:29], s[40:41]
	s_delay_alu instid0(VALU_DEP_2) | instskip(SKIP_2) | instid1(VALU_DEP_3)
	v_add_f64 v[56:57], v[60:61], v[56:57]
	v_fma_f64 v[60:61], v[0:1], s[24:25], -v[251:252]
	v_mul_f64 v[251:252], v[187:188], s[42:43]
	v_add_f64 v[166:167], v[62:63], v[56:57]
	v_mul_f64 v[56:57], v[227:228], s[44:45]
	s_delay_alu instid0(VALU_DEP_4) | instskip(NEXT) | instid1(VALU_DEP_2)
	v_add_f64 v[164:165], v[60:61], v[58:59]
	v_fma_f64 v[58:59], v[24:25], s[14:15], v[56:57]
	s_delay_alu instid0(VALU_DEP_1) | instskip(SKIP_1) | instid1(VALU_DEP_1)
	v_add_f64 v[54:55], v[58:59], v[54:55]
	v_mul_f64 v[58:59], v[225:226], s[14:15]
	v_fma_f64 v[60:61], v[26:27], s[2:3], v[58:59]
	s_delay_alu instid0(VALU_DEP_1) | instskip(SKIP_1) | instid1(VALU_DEP_1)
	v_add_f64 v[52:53], v[60:61], v[52:53]
	v_mul_f64 v[60:61], v[223:224], s[36:37]
	;; [unrolled: 4-line block ×7, first 2 shown]
	v_fma_f64 v[172:173], v[14:15], s[20:21], v[82:83]
	s_delay_alu instid0(VALU_DEP_1) | instskip(SKIP_1) | instid1(VALU_DEP_1)
	v_add_f64 v[52:53], v[172:173], v[52:53]
	v_fma_f64 v[172:173], v[8:9], s[22:23], v[176:177]
	v_add_f64 v[54:55], v[172:173], v[54:55]
	v_fma_f64 v[172:173], v[10:11], s[50:51], v[178:179]
	s_delay_alu instid0(VALU_DEP_1) | instskip(SKIP_1) | instid1(VALU_DEP_1)
	v_add_f64 v[52:53], v[172:173], v[52:53]
	v_fma_f64 v[172:173], v[4:5], s[40:41], v[241:242]
	v_add_f64 v[54:55], v[172:173], v[54:55]
	;; [unrolled: 5-line block ×3, first 2 shown]
	v_mul_f64 v[54:55], v[181:182], s[18:19]
	s_delay_alu instid0(VALU_DEP_1) | instskip(SKIP_1) | instid1(VALU_DEP_2)
	v_fma_f64 v[174:175], v[2:3], s[28:29], v[54:55]
	v_fma_f64 v[54:55], v[2:3], s[42:43], v[54:55]
	v_add_f64 v[174:175], v[174:175], v[52:53]
	v_fma_f64 v[52:53], v[24:25], s[14:15], -v[56:57]
	s_delay_alu instid0(VALU_DEP_1) | instskip(SKIP_1) | instid1(VALU_DEP_1)
	v_add_f64 v[50:51], v[52:53], v[50:51]
	v_fma_f64 v[52:53], v[26:27], s[44:45], v[58:59]
	v_add_f64 v[48:49], v[52:53], v[48:49]
	v_fma_f64 v[52:53], v[20:21], s[26:27], -v[60:61]
	s_delay_alu instid0(VALU_DEP_1) | instskip(SKIP_1) | instid1(VALU_DEP_1)
	v_add_f64 v[50:51], v[52:53], v[50:51]
	;; [unrolled: 5-line block ×5, first 2 shown]
	v_fma_f64 v[52:53], v[10:11], s[34:35], v[178:179]
	v_add_f64 v[48:49], v[52:53], v[48:49]
	v_fma_f64 v[52:53], v[4:5], s[40:41], -v[241:242]
	s_delay_alu instid0(VALU_DEP_1) | instskip(SKIP_2) | instid1(VALU_DEP_2)
	v_add_f64 v[50:51], v[52:53], v[50:51]
	v_fma_f64 v[52:53], v[6:7], s[38:39], v[248:249]
	v_mul_f64 v[248:249], v[187:188], s[2:3]
	v_add_f64 v[48:49], v[52:53], v[48:49]
	v_fma_f64 v[52:53], v[0:1], s[18:19], -v[251:252]
	v_mul_f64 v[251:252], v[181:182], s[14:15]
	s_delay_alu instid0(VALU_DEP_3) | instskip(SKIP_1) | instid1(VALU_DEP_4)
	v_add_f64 v[178:179], v[54:55], v[48:49]
	v_mul_f64 v[48:49], v[227:228], s[42:43]
	v_add_f64 v[176:177], v[52:53], v[50:51]
	s_delay_alu instid0(VALU_DEP_2) | instskip(SKIP_1) | instid1(VALU_DEP_2)
	v_fma_f64 v[50:51], v[24:25], s[18:19], v[48:49]
	v_fma_f64 v[48:49], v[24:25], s[18:19], -v[48:49]
	v_add_f64 v[46:47], v[50:51], v[46:47]
	v_mul_f64 v[50:51], v[225:226], s[18:19]
	s_delay_alu instid0(VALU_DEP_3) | instskip(NEXT) | instid1(VALU_DEP_2)
	v_add_f64 v[42:43], v[48:49], v[42:43]
	v_fma_f64 v[52:53], v[26:27], s[28:29], v[50:51]
	v_fma_f64 v[48:49], v[26:27], s[42:43], v[50:51]
	;; [unrolled: 1-line block ×3, first 2 shown]
	s_delay_alu instid0(VALU_DEP_3) | instskip(SKIP_1) | instid1(VALU_DEP_4)
	v_add_f64 v[44:45], v[52:53], v[44:45]
	v_mul_f64 v[52:53], v[223:224], s[20:21]
	v_add_f64 v[40:41], v[48:49], v[40:41]
	s_delay_alu instid0(VALU_DEP_2) | instskip(SKIP_2) | instid1(VALU_DEP_3)
	v_fma_f64 v[54:55], v[20:21], s[12:13], v[52:53]
	v_fma_f64 v[48:49], v[20:21], s[12:13], -v[52:53]
	v_mul_f64 v[52:53], v[225:226], s[26:27]
	v_add_f64 v[46:47], v[54:55], v[46:47]
	v_mul_f64 v[54:55], v[34:35], s[12:13]
	s_delay_alu instid0(VALU_DEP_4) | instskip(SKIP_1) | instid1(VALU_DEP_3)
	v_add_f64 v[42:43], v[48:49], v[42:43]
	v_mul_f64 v[34:35], v[34:35], s[30:31]
	v_fma_f64 v[56:57], v[22:23], s[56:57], v[54:55]
	v_fma_f64 v[48:49], v[22:23], s[20:21], v[54:55]
	;; [unrolled: 1-line block ×5, first 2 shown]
	v_add_f64 v[44:45], v[56:57], v[44:45]
	v_mul_f64 v[56:57], v[32:33], s[54:55]
	v_add_f64 v[40:41], v[48:49], v[40:41]
	v_add_f64 v[54:55], v[54:55], v[74:75]
	v_mul_f64 v[32:33], v[32:33], s[50:51]
	v_add_f64 v[52:53], v[52:53], v[70:71]
	v_add_f64 v[26:27], v[26:27], v[68:69]
	v_fma_f64 v[58:59], v[16:17], s[24:25], v[56:57]
	v_fma_f64 v[48:49], v[16:17], s[24:25], -v[56:57]
	v_mul_f64 v[56:57], v[223:224], s[16:17]
	s_delay_alu instid0(VALU_DEP_3) | instskip(SKIP_1) | instid1(VALU_DEP_4)
	v_add_f64 v[46:47], v[58:59], v[46:47]
	v_mul_f64 v[58:59], v[221:222], s[24:25]
	v_add_f64 v[42:43], v[48:49], v[42:43]
	s_delay_alu instid0(VALU_DEP_2) | instskip(SKIP_2) | instid1(VALU_DEP_3)
	v_fma_f64 v[60:61], v[18:19], s[8:9], v[58:59]
	v_fma_f64 v[48:49], v[18:19], s[54:55], v[58:59]
	;; [unrolled: 1-line block ×3, first 2 shown]
	v_add_f64 v[44:45], v[60:61], v[44:45]
	v_mul_f64 v[60:61], v[219:220], s[36:37]
	s_delay_alu instid0(VALU_DEP_4) | instskip(NEXT) | instid1(VALU_DEP_2)
	v_add_f64 v[40:41], v[48:49], v[40:41]
	v_fma_f64 v[62:63], v[12:13], s[26:27], v[60:61]
	v_fma_f64 v[48:49], v[12:13], s[26:27], -v[60:61]
	s_delay_alu instid0(VALU_DEP_2) | instskip(SKIP_1) | instid1(VALU_DEP_3)
	v_add_f64 v[46:47], v[62:63], v[46:47]
	v_mul_f64 v[62:63], v[217:218], s[26:27]
	v_add_f64 v[42:43], v[48:49], v[42:43]
	s_delay_alu instid0(VALU_DEP_2) | instskip(SKIP_1) | instid1(VALU_DEP_2)
	v_fma_f64 v[64:65], v[14:15], s[46:47], v[62:63]
	v_fma_f64 v[48:49], v[14:15], s[36:37], v[62:63]
	v_add_f64 v[44:45], v[64:65], v[44:45]
	v_mul_f64 v[64:65], v[209:210], s[38:39]
	s_delay_alu instid0(VALU_DEP_3) | instskip(NEXT) | instid1(VALU_DEP_2)
	v_add_f64 v[40:41], v[48:49], v[40:41]
	v_fma_f64 v[78:79], v[8:9], s[40:41], v[64:65]
	v_fma_f64 v[48:49], v[8:9], s[40:41], -v[64:65]
	s_delay_alu instid0(VALU_DEP_2) | instskip(SKIP_1) | instid1(VALU_DEP_3)
	v_add_f64 v[46:47], v[78:79], v[46:47]
	v_mul_f64 v[78:79], v[199:200], s[40:41]
	v_add_f64 v[42:43], v[48:49], v[42:43]
	s_delay_alu instid0(VALU_DEP_2) | instskip(SKIP_2) | instid1(VALU_DEP_3)
	v_fma_f64 v[80:81], v[10:11], s[52:53], v[78:79]
	v_fma_f64 v[48:49], v[10:11], s[38:39], v[78:79]
	v_mul_f64 v[78:79], v[187:188], s[56:57]
	v_add_f64 v[44:45], v[80:81], v[44:45]
	v_mul_f64 v[80:81], v[30:31], s[50:51]
	s_delay_alu instid0(VALU_DEP_4) | instskip(NEXT) | instid1(VALU_DEP_2)
	v_add_f64 v[40:41], v[48:49], v[40:41]
	v_fma_f64 v[82:83], v[4:5], s[22:23], v[80:81]
	v_fma_f64 v[48:49], v[4:5], s[22:23], -v[80:81]
	v_mul_f64 v[80:81], v[181:182], s[12:13]
	s_delay_alu instid0(VALU_DEP_3) | instskip(SKIP_1) | instid1(VALU_DEP_4)
	v_add_f64 v[46:47], v[82:83], v[46:47]
	v_mul_f64 v[82:83], v[28:29], s[22:23]
	v_add_f64 v[42:43], v[48:49], v[42:43]
	s_delay_alu instid0(VALU_DEP_2) | instskip(SKIP_1) | instid1(VALU_DEP_2)
	v_fma_f64 v[48:49], v[6:7], s[50:51], v[82:83]
	v_fma_f64 v[241:242], v[6:7], s[34:35], v[82:83]
	v_add_f64 v[48:49], v[48:49], v[40:41]
	v_fma_f64 v[40:41], v[0:1], s[14:15], -v[248:249]
	s_delay_alu instid0(VALU_DEP_3) | instskip(SKIP_1) | instid1(VALU_DEP_3)
	v_add_f64 v[241:242], v[241:242], v[44:45]
	v_fma_f64 v[44:45], v[0:1], s[14:15], v[248:249]
	v_add_f64 v[40:41], v[40:41], v[42:43]
	v_add_f64 v[42:43], v[50:51], v[48:49]
	v_mul_f64 v[48:49], v[227:228], s[46:47]
	s_delay_alu instid0(VALU_DEP_4) | instskip(SKIP_1) | instid1(VALU_DEP_3)
	v_add_f64 v[44:45], v[44:45], v[46:47]
	v_fma_f64 v[46:47], v[2:3], s[44:45], v[251:252]
	v_fma_f64 v[50:51], v[24:25], s[26:27], v[48:49]
	v_fma_f64 v[48:49], v[24:25], s[26:27], -v[48:49]
	v_fma_f64 v[24:25], v[24:25], s[22:23], -v[189:190]
	s_delay_alu instid0(VALU_DEP_4) | instskip(NEXT) | instid1(VALU_DEP_4)
	v_add_f64 v[46:47], v[46:47], v[241:242]
	v_add_f64 v[50:51], v[50:51], v[76:77]
	s_delay_alu instid0(VALU_DEP_4) | instskip(NEXT) | instid1(VALU_DEP_4)
	v_add_f64 v[48:49], v[48:49], v[72:73]
	v_add_f64 v[24:25], v[24:25], v[66:67]
	s_delay_alu instid0(VALU_DEP_3) | instskip(SKIP_3) | instid1(VALU_DEP_3)
	v_add_f64 v[50:51], v[58:59], v[50:51]
	v_fma_f64 v[58:59], v[22:23], s[48:49], v[34:35]
	v_fma_f64 v[34:35], v[22:23], s[16:17], v[34:35]
	;; [unrolled: 1-line block ×3, first 2 shown]
	v_add_f64 v[54:55], v[58:59], v[54:55]
	v_fma_f64 v[58:59], v[16:17], s[22:23], v[32:33]
	v_fma_f64 v[32:33], v[16:17], s[22:23], -v[32:33]
	v_add_f64 v[34:35], v[34:35], v[52:53]
	v_fma_f64 v[16:17], v[16:17], s[12:13], -v[197:198]
	v_add_f64 v[22:23], v[22:23], v[26:27]
	v_add_f64 v[50:51], v[58:59], v[50:51]
	v_mul_f64 v[58:59], v[221:222], s[22:23]
	s_delay_alu instid0(VALU_DEP_1) | instskip(NEXT) | instid1(VALU_DEP_1)
	v_fma_f64 v[60:61], v[18:19], s[34:35], v[58:59]
	v_add_f64 v[54:55], v[60:61], v[54:55]
	v_mul_f64 v[60:61], v[219:220], s[8:9]
	s_delay_alu instid0(VALU_DEP_1) | instskip(NEXT) | instid1(VALU_DEP_1)
	v_fma_f64 v[62:63], v[12:13], s[24:25], v[60:61]
	;; [unrolled: 4-line block ×7, first 2 shown]
	v_add_f64 v[54:55], v[28:29], v[54:55]
	v_fma_f64 v[28:29], v[0:1], s[12:13], v[78:79]
	s_delay_alu instid0(VALU_DEP_1) | instskip(SKIP_1) | instid1(VALU_DEP_1)
	v_add_f64 v[28:29], v[28:29], v[30:31]
	v_fma_f64 v[30:31], v[2:3], s[20:21], v[80:81]
	v_add_f64 v[30:31], v[30:31], v[54:55]
	v_fma_f64 v[54:55], v[20:21], s[30:31], -v[56:57]
	v_fma_f64 v[20:21], v[20:21], s[18:19], -v[193:194]
	s_delay_alu instid0(VALU_DEP_2) | instskip(NEXT) | instid1(VALU_DEP_2)
	v_add_f64 v[48:49], v[54:55], v[48:49]
	v_add_f64 v[20:21], v[20:21], v[24:25]
	s_delay_alu instid0(VALU_DEP_2) | instskip(SKIP_2) | instid1(VALU_DEP_4)
	v_add_f64 v[32:33], v[32:33], v[48:49]
	v_fma_f64 v[48:49], v[18:19], s[50:51], v[58:59]
	v_fma_f64 v[18:19], v[18:19], s[20:21], v[201:202]
	v_add_f64 v[16:17], v[16:17], v[20:21]
	s_delay_alu instid0(VALU_DEP_3) | instskip(SKIP_3) | instid1(VALU_DEP_3)
	v_add_f64 v[34:35], v[48:49], v[34:35]
	v_fma_f64 v[48:49], v[12:13], s[24:25], -v[60:61]
	v_fma_f64 v[12:13], v[12:13], s[14:15], -v[203:204]
	v_add_f64 v[18:19], v[18:19], v[22:23]
	v_add_f64 v[32:33], v[48:49], v[32:33]
	v_fma_f64 v[48:49], v[14:15], s[8:9], v[62:63]
	v_fma_f64 v[14:15], v[14:15], s[2:3], v[205:206]
	v_add_f64 v[12:13], v[12:13], v[16:17]
	s_delay_alu instid0(VALU_DEP_3) | instskip(SKIP_3) | instid1(VALU_DEP_3)
	v_add_f64 v[34:35], v[48:49], v[34:35]
	v_fma_f64 v[48:49], v[8:9], s[18:19], -v[64:65]
	v_fma_f64 v[8:9], v[8:9], s[24:25], -v[207:208]
	v_add_f64 v[14:15], v[14:15], v[18:19]
	;; [unrolled: 9-line block ×3, first 2 shown]
	v_add_f64 v[32:33], v[48:49], v[32:33]
	v_fma_f64 v[48:49], v[6:7], s[2:3], v[50:51]
	v_fma_f64 v[6:7], v[6:7], s[16:17], v[215:216]
	;; [unrolled: 1-line block ×4, first 2 shown]
	v_add_f64 v[4:5], v[4:5], v[8:9]
	v_add_f64 v[34:35], v[48:49], v[34:35]
	v_fma_f64 v[48:49], v[0:1], s[12:13], -v[78:79]
	v_fma_f64 v[0:1], v[0:1], s[40:41], -v[36:37]
	v_add_f64 v[6:7], v[6:7], v[10:11]
	s_delay_alu instid0(VALU_DEP_4) | instskip(NEXT) | instid1(VALU_DEP_4)
	v_add_f64 v[34:35], v[50:51], v[34:35]
	v_add_f64 v[32:33], v[48:49], v[32:33]
	s_delay_alu instid0(VALU_DEP_4) | instskip(NEXT) | instid1(VALU_DEP_4)
	v_add_f64 v[0:1], v[0:1], v[4:5]
	v_add_f64 v[2:3], v[2:3], v[6:7]
	ds_store_b128 v250, v[132:135] offset:16
	ds_store_b128 v250, v[144:147] offset:32
	;; [unrolled: 1-line block ×16, first 2 shown]
	ds_store_b128 v250, v[136:139]
	s_waitcnt lgkmcnt(0)
	s_barrier
	buffer_gl0_inv
	ds_load_b128 v[0:3], v180 offset:272
	ds_load_b128 v[6:9], v180 offset:816
	;; [unrolled: 1-line block ×7, first 2 shown]
	s_waitcnt lgkmcnt(6)
	v_mul_f64 v[4:5], v[239:240], v[2:3]
	s_delay_alu instid0(VALU_DEP_1) | instskip(SKIP_1) | instid1(VALU_DEP_1)
	v_fma_f64 v[34:35], v[237:238], v[0:1], v[4:5]
	v_mul_f64 v[0:1], v[239:240], v[0:1]
	v_fma_f64 v[40:41], v[237:238], v[2:3], -v[0:1]
	ds_load_b128 v[2:5], v180 offset:544
	s_waitcnt lgkmcnt(0)
	v_mul_f64 v[0:1], v[185:186], v[4:5]
	s_delay_alu instid0(VALU_DEP_1) | instskip(SKIP_1) | instid1(VALU_DEP_1)
	v_fma_f64 v[0:1], v[183:184], v[2:3], v[0:1]
	v_mul_f64 v[2:3], v[185:186], v[2:3]
	v_fma_f64 v[2:3], v[183:184], v[4:5], -v[2:3]
	v_mul_f64 v[4:5], v[231:232], v[8:9]
	s_delay_alu instid0(VALU_DEP_1) | instskip(SKIP_1) | instid1(VALU_DEP_1)
	v_fma_f64 v[4:5], v[229:230], v[6:7], v[4:5]
	v_mul_f64 v[6:7], v[231:232], v[6:7]
	v_fma_f64 v[6:7], v[229:230], v[8:9], -v[6:7]
	;; [unrolled: 5-line block ×7, first 2 shown]
	ds_load_b128 v[28:31], v180 offset:2448
	s_waitcnt lgkmcnt(0)
	v_mul_f64 v[32:33], v[102:103], v[30:31]
	s_delay_alu instid0(VALU_DEP_1) | instskip(SKIP_1) | instid1(VALU_DEP_2)
	v_fma_f64 v[76:77], v[100:101], v[28:29], v[32:33]
	v_mul_f64 v[28:29], v[102:103], v[28:29]
	v_add_f64 v[183:184], v[24:25], v[76:77]
	s_delay_alu instid0(VALU_DEP_2)
	v_fma_f64 v[78:79], v[100:101], v[30:31], -v[28:29]
	ds_load_b128 v[28:31], v180 offset:2720
	s_waitcnt lgkmcnt(0)
	v_mul_f64 v[32:33], v[106:107], v[30:31]
	v_add_f64 v[205:206], v[26:27], -v[78:79]
	v_add_f64 v[209:210], v[26:27], v[78:79]
	s_delay_alu instid0(VALU_DEP_3) | instskip(SKIP_1) | instid1(VALU_DEP_4)
	v_fma_f64 v[80:81], v[104:105], v[28:29], v[32:33]
	v_mul_f64 v[28:29], v[106:107], v[28:29]
	v_mul_f64 v[207:208], v[205:206], s[38:39]
	s_delay_alu instid0(VALU_DEP_4) | instskip(NEXT) | instid1(VALU_DEP_4)
	v_mul_f64 v[211:212], v[209:210], s[40:41]
	v_add_f64 v[168:169], v[20:21], v[80:81]
	s_delay_alu instid0(VALU_DEP_4)
	v_fma_f64 v[82:83], v[104:105], v[30:31], -v[28:29]
	ds_load_b128 v[28:31], v180 offset:2992
	v_add_f64 v[170:171], v[20:21], -v[80:81]
	s_waitcnt lgkmcnt(0)
	v_mul_f64 v[32:33], v[110:111], v[30:31]
	v_add_f64 v[176:177], v[22:23], -v[82:83]
	v_add_f64 v[178:179], v[22:23], v[82:83]
	s_delay_alu instid0(VALU_DEP_3) | instskip(SKIP_1) | instid1(VALU_DEP_4)
	v_fma_f64 v[84:85], v[108:109], v[28:29], v[32:33]
	v_mul_f64 v[28:29], v[110:111], v[28:29]
	v_mul_f64 v[201:202], v[176:177], s[16:17]
	s_delay_alu instid0(VALU_DEP_4) | instskip(NEXT) | instid1(VALU_DEP_3)
	v_mul_f64 v[203:204], v[178:179], s[30:31]
	v_fma_f64 v[86:87], v[108:109], v[30:31], -v[28:29]
	ds_load_b128 v[28:31], v180 offset:3264
	s_waitcnt lgkmcnt(0)
	v_mul_f64 v[32:33], v[114:115], v[30:31]
	v_add_f64 v[158:159], v[18:19], -v[86:87]
	v_add_f64 v[162:163], v[18:19], v[86:87]
	s_delay_alu instid0(VALU_DEP_3) | instskip(SKIP_1) | instid1(VALU_DEP_4)
	v_fma_f64 v[88:89], v[112:113], v[28:29], v[32:33]
	v_mul_f64 v[28:29], v[114:115], v[28:29]
	v_mul_f64 v[197:198], v[158:159], s[8:9]
	s_delay_alu instid0(VALU_DEP_4) | instskip(NEXT) | instid1(VALU_DEP_3)
	v_mul_f64 v[199:200], v[162:163], s[24:25]
	v_fma_f64 v[90:91], v[112:113], v[30:31], -v[28:29]
	ds_load_b128 v[28:31], v180 offset:3536
	s_waitcnt lgkmcnt(0)
	v_mul_f64 v[32:33], v[122:123], v[30:31]
	s_delay_alu instid0(VALU_DEP_1) | instskip(SKIP_1) | instid1(VALU_DEP_1)
	v_fma_f64 v[92:93], v[120:121], v[28:29], v[32:33]
	v_mul_f64 v[28:29], v[122:123], v[28:29]
	v_fma_f64 v[94:95], v[120:121], v[30:31], -v[28:29]
	ds_load_b128 v[28:31], v180 offset:3808
	s_waitcnt lgkmcnt(0)
	v_mul_f64 v[32:33], v[126:127], v[30:31]
	s_delay_alu instid0(VALU_DEP_1) | instskip(SKIP_1) | instid1(VALU_DEP_1)
	v_fma_f64 v[96:97], v[124:125], v[28:29], v[32:33]
	;; [unrolled: 7-line block ×3, first 2 shown]
	v_mul_f64 v[28:29], v[130:131], v[28:29]
	v_fma_f64 v[102:103], v[128:129], v[30:31], -v[28:29]
	ds_load_b128 v[30:33], v180 offset:4352
	s_waitcnt lgkmcnt(0)
	v_mul_f64 v[28:29], v[118:119], v[30:31]
	s_delay_alu instid0(VALU_DEP_1) | instskip(SKIP_1) | instid1(VALU_DEP_1)
	v_fma_f64 v[28:29], v[116:117], v[32:33], -v[28:29]
	v_mul_f64 v[32:33], v[118:119], v[32:33]
	v_fma_f64 v[30:31], v[116:117], v[30:31], v[32:33]
	s_delay_alu instid0(VALU_DEP_3) | instskip(NEXT) | instid1(VALU_DEP_2)
	v_add_f64 v[32:33], v[40:41], -v[28:29]
	v_add_f64 v[52:53], v[34:35], v[30:31]
	s_delay_alu instid0(VALU_DEP_2)
	v_mul_f64 v[36:37], v[32:33], s[36:37]
	v_mul_f64 v[38:39], v[32:33], s[34:35]
	;; [unrolled: 1-line block ×8, first 2 shown]
	v_add_f64 v[110:111], v[34:35], -v[30:31]
	v_fma_f64 v[54:55], v[52:53], s[26:27], v[36:37]
	v_fma_f64 v[56:57], v[52:53], s[26:27], -v[36:37]
	v_fma_f64 v[58:59], v[52:53], s[22:23], v[38:39]
	v_fma_f64 v[60:61], v[52:53], s[22:23], -v[38:39]
	v_fma_f64 v[62:63], v[52:53], s[18:19], v[42:43]
	v_fma_f64 v[42:43], v[52:53], s[18:19], -v[42:43]
	v_fma_f64 v[64:65], v[52:53], s[12:13], v[44:45]
	v_fma_f64 v[44:45], v[52:53], s[12:13], -v[44:45]
	v_fma_f64 v[66:67], v[52:53], s[14:15], v[46:47]
	v_fma_f64 v[46:47], v[52:53], s[14:15], -v[46:47]
	v_fma_f64 v[68:69], v[52:53], s[24:25], v[48:49]
	v_fma_f64 v[48:49], v[52:53], s[24:25], -v[48:49]
	v_fma_f64 v[70:71], v[52:53], s[30:31], v[50:51]
	v_fma_f64 v[50:51], v[52:53], s[30:31], -v[50:51]
	v_fma_f64 v[112:113], v[52:53], s[40:41], v[32:33]
	v_fma_f64 v[52:53], v[52:53], s[40:41], -v[32:33]
	v_add_f64 v[32:33], v[40:41], v[28:29]
	s_delay_alu instid0(VALU_DEP_1)
	v_mul_f64 v[38:39], v[32:33], s[22:23]
	v_mul_f64 v[36:37], v[32:33], s[26:27]
	;; [unrolled: 1-line block ×8, first 2 shown]
	v_fma_f64 v[118:119], v[110:111], s[50:51], v[38:39]
	v_fma_f64 v[114:115], v[110:111], s[46:47], v[36:37]
	v_fma_f64 v[116:117], v[110:111], s[36:37], v[36:37]
	v_fma_f64 v[120:121], v[110:111], s[34:35], v[38:39]
	ds_load_b128 v[36:39], v180
	v_fma_f64 v[136:137], v[110:111], s[54:55], v[106:107]
	v_fma_f64 v[106:107], v[110:111], s[8:9], v[106:107]
	;; [unrolled: 1-line block ×12, first 2 shown]
	s_waitcnt lgkmcnt(0)
	v_add_f64 v[32:33], v[36:37], v[34:35]
	v_add_f64 v[34:35], v[38:39], v[40:41]
	;; [unrolled: 1-line block ×16, first 2 shown]
	v_add_f64 v[48:49], v[2:3], -v[102:103]
	v_add_f64 v[72:73], v[38:39], v[116:117]
	v_add_f64 v[114:115], v[38:39], v[114:115]
	;; [unrolled: 1-line block ×9, first 2 shown]
	v_add_f64 v[112:113], v[6:7], -v[98:99]
	v_add_f64 v[140:141], v[38:39], v[128:129]
	v_add_f64 v[128:129], v[10:11], -v[94:95]
	v_add_f64 v[152:153], v[38:39], v[124:125]
	v_add_f64 v[132:133], v[38:39], v[130:131]
	;; [unrolled: 1-line block ×7, first 2 shown]
	v_add_f64 v[126:127], v[8:9], -v[92:93]
	v_add_f64 v[144:145], v[14:15], -v[90:91]
	v_add_f64 v[164:165], v[38:39], v[120:121]
	v_add_f64 v[120:121], v[38:39], v[136:137]
	;; [unrolled: 1-line block ×6, first 2 shown]
	v_add_f64 v[138:139], v[12:13], -v[88:89]
	v_add_f64 v[38:39], v[38:39], v[156:157]
	v_add_f64 v[156:157], v[16:17], v[84:85]
	;; [unrolled: 1-line block ×3, first 2 shown]
	v_mul_f64 v[181:182], v[48:49], s[34:35]
	v_mul_f64 v[64:65], v[50:51], s[22:23]
	;; [unrolled: 1-line block ×7, first 2 shown]
	v_add_f64 v[2:3], v[2:3], v[6:7]
	v_fma_f64 v[42:43], v[40:41], s[22:23], v[181:182]
	v_fma_f64 v[181:182], v[40:41], s[22:23], -v[181:182]
	s_delay_alu instid0(VALU_DEP_3) | instskip(NEXT) | instid1(VALU_DEP_3)
	v_add_f64 v[2:3], v[2:3], v[10:11]
	v_add_f64 v[54:55], v[42:43], v[54:55]
	v_add_f64 v[42:43], v[0:1], -v[100:101]
	s_delay_alu instid0(VALU_DEP_4) | instskip(SKIP_2) | instid1(VALU_DEP_4)
	v_add_f64 v[74:75], v[181:182], v[74:75]
	v_add_f64 v[0:1], v[32:33], v[0:1]
	;; [unrolled: 1-line block ×3, first 2 shown]
	v_fma_f64 v[52:53], v[42:43], s[50:51], v[64:65]
	v_fma_f64 v[64:65], v[42:43], s[34:35], v[64:65]
	s_delay_alu instid0(VALU_DEP_4) | instskip(NEXT) | instid1(VALU_DEP_4)
	v_add_f64 v[0:1], v[0:1], v[4:5]
	v_add_f64 v[2:3], v[2:3], v[18:19]
	s_delay_alu instid0(VALU_DEP_4)
	v_add_f64 v[60:61], v[52:53], v[114:115]
	v_add_f64 v[52:53], v[4:5], v[96:97]
	;; [unrolled: 1-line block ×6, first 2 shown]
	v_fma_f64 v[66:67], v[52:53], s[18:19], v[185:186]
	v_mul_f64 v[187:188], v[114:115], s[18:19]
	v_fma_f64 v[72:73], v[52:53], s[18:19], -v[185:186]
	v_add_f64 v[0:1], v[0:1], v[12:13]
	v_add_f64 v[2:3], v[2:3], v[26:27]
	;; [unrolled: 1-line block ×3, first 2 shown]
	v_add_f64 v[54:55], v[4:5], -v[96:97]
	v_add_f64 v[72:73], v[72:73], v[74:75]
	v_add_f64 v[0:1], v[0:1], v[16:17]
	;; [unrolled: 1-line block ×3, first 2 shown]
	s_delay_alu instid0(VALU_DEP_4) | instskip(SKIP_1) | instid1(VALU_DEP_4)
	v_fma_f64 v[68:69], v[54:55], s[42:43], v[187:188]
	v_fma_f64 v[74:75], v[54:55], s[28:29], v[187:188]
	v_add_f64 v[0:1], v[0:1], v[20:21]
	s_delay_alu instid0(VALU_DEP_4) | instskip(NEXT) | instid1(VALU_DEP_4)
	v_add_f64 v[2:3], v[2:3], v[82:83]
	v_add_f64 v[60:61], v[68:69], v[60:61]
	v_fma_f64 v[68:69], v[124:125], s[12:13], v[189:190]
	v_add_f64 v[64:65], v[74:75], v[64:65]
	v_fma_f64 v[74:75], v[124:125], s[12:13], -v[189:190]
	v_add_f64 v[0:1], v[0:1], v[24:25]
	v_add_f64 v[2:3], v[2:3], v[86:87]
	;; [unrolled: 1-line block ×3, first 2 shown]
	v_fma_f64 v[68:69], v[126:127], s[56:57], v[191:192]
	v_add_f64 v[72:73], v[74:75], v[72:73]
	v_fma_f64 v[74:75], v[126:127], s[20:21], v[191:192]
	v_add_f64 v[0:1], v[0:1], v[76:77]
	v_add_f64 v[2:3], v[2:3], v[90:91]
	;; [unrolled: 1-line block ×3, first 2 shown]
	v_fma_f64 v[68:69], v[136:137], s[14:15], v[193:194]
	v_add_f64 v[64:65], v[74:75], v[64:65]
	v_fma_f64 v[74:75], v[136:137], s[14:15], -v[193:194]
	v_add_f64 v[0:1], v[0:1], v[80:81]
	v_add_f64 v[2:3], v[2:3], v[94:95]
	;; [unrolled: 1-line block ×3, first 2 shown]
	v_fma_f64 v[68:69], v[138:139], s[44:45], v[195:196]
	v_add_f64 v[72:73], v[74:75], v[72:73]
	v_fma_f64 v[74:75], v[138:139], s[2:3], v[195:196]
	v_add_f64 v[0:1], v[0:1], v[84:85]
	v_add_f64 v[2:3], v[2:3], v[98:99]
	;; [unrolled: 1-line block ×3, first 2 shown]
	v_fma_f64 v[60:61], v[156:157], s[24:25], v[197:198]
	v_add_f64 v[64:65], v[74:75], v[64:65]
	v_fma_f64 v[74:75], v[156:157], s[24:25], -v[197:198]
	v_add_f64 v[0:1], v[0:1], v[88:89]
	v_add_f64 v[2:3], v[2:3], v[102:103]
	;; [unrolled: 1-line block ×3, first 2 shown]
	v_add_f64 v[60:61], v[16:17], -v[84:85]
	v_add_f64 v[72:73], v[74:75], v[72:73]
	v_add_f64 v[0:1], v[0:1], v[92:93]
	;; [unrolled: 1-line block ×3, first 2 shown]
	s_delay_alu instid0(VALU_DEP_4) | instskip(SKIP_1) | instid1(VALU_DEP_4)
	v_fma_f64 v[70:71], v[60:61], s[54:55], v[199:200]
	v_fma_f64 v[74:75], v[60:61], s[8:9], v[199:200]
	v_add_f64 v[0:1], v[0:1], v[96:97]
	s_delay_alu instid0(VALU_DEP_3) | instskip(SKIP_1) | instid1(VALU_DEP_4)
	v_add_f64 v[68:69], v[70:71], v[68:69]
	v_fma_f64 v[70:71], v[168:169], s[30:31], v[201:202]
	v_add_f64 v[64:65], v[74:75], v[64:65]
	v_fma_f64 v[74:75], v[168:169], s[30:31], -v[201:202]
	v_add_f64 v[0:1], v[0:1], v[100:101]
	s_delay_alu instid0(VALU_DEP_4) | instskip(SKIP_1) | instid1(VALU_DEP_4)
	v_add_f64 v[66:67], v[70:71], v[66:67]
	v_fma_f64 v[70:71], v[170:171], s[48:49], v[203:204]
	v_add_f64 v[72:73], v[74:75], v[72:73]
	v_fma_f64 v[74:75], v[170:171], s[16:17], v[203:204]
	v_add_f64 v[0:1], v[0:1], v[30:31]
	s_delay_alu instid0(VALU_DEP_4) | instskip(SKIP_1) | instid1(VALU_DEP_4)
	v_add_f64 v[70:71], v[70:71], v[68:69]
	v_fma_f64 v[68:69], v[183:184], s[40:41], v[207:208]
	v_add_f64 v[64:65], v[74:75], v[64:65]
	v_fma_f64 v[74:75], v[183:184], s[40:41], -v[207:208]
	s_delay_alu instid0(VALU_DEP_3) | instskip(SKIP_1) | instid1(VALU_DEP_3)
	v_add_f64 v[68:69], v[68:69], v[66:67]
	v_add_f64 v[66:67], v[24:25], -v[76:77]
	v_add_f64 v[72:73], v[74:75], v[72:73]
	s_delay_alu instid0(VALU_DEP_2) | instskip(SKIP_2) | instid1(VALU_DEP_3)
	v_fma_f64 v[181:182], v[66:67], s[38:39], v[211:212]
	v_fma_f64 v[213:214], v[66:67], s[52:53], v[211:212]
	v_mul_f64 v[211:212], v[205:206], s[46:47]
	v_add_f64 v[74:75], v[181:182], v[64:65]
	v_mul_f64 v[64:65], v[48:49], s[20:21]
	s_delay_alu instid0(VALU_DEP_4) | instskip(SKIP_1) | instid1(VALU_DEP_3)
	v_add_f64 v[70:71], v[213:214], v[70:71]
	v_mul_f64 v[213:214], v[209:210], s[26:27]
	v_fma_f64 v[181:182], v[40:41], s[12:13], v[64:65]
	v_fma_f64 v[64:65], v[40:41], s[12:13], -v[64:65]
	s_delay_alu instid0(VALU_DEP_2) | instskip(SKIP_1) | instid1(VALU_DEP_3)
	v_add_f64 v[174:175], v[181:182], v[174:175]
	v_mul_f64 v[181:182], v[50:51], s[12:13]
	v_add_f64 v[64:65], v[64:65], v[166:167]
	s_delay_alu instid0(VALU_DEP_2) | instskip(SKIP_2) | instid1(VALU_DEP_3)
	v_fma_f64 v[185:186], v[42:43], s[56:57], v[181:182]
	v_fma_f64 v[166:167], v[42:43], s[20:21], v[181:182]
	v_fma_f64 v[181:182], v[66:67], s[46:47], v[213:214]
	v_add_f64 v[172:173], v[185:186], v[172:173]
	v_mul_f64 v[185:186], v[112:113], s[8:9]
	s_delay_alu instid0(VALU_DEP_4) | instskip(NEXT) | instid1(VALU_DEP_2)
	v_add_f64 v[164:165], v[166:167], v[164:165]
	v_fma_f64 v[187:188], v[52:53], s[24:25], v[185:186]
	v_fma_f64 v[166:167], v[52:53], s[24:25], -v[185:186]
	s_delay_alu instid0(VALU_DEP_2) | instskip(SKIP_1) | instid1(VALU_DEP_3)
	v_add_f64 v[174:175], v[187:188], v[174:175]
	v_mul_f64 v[187:188], v[114:115], s[24:25]
	v_add_f64 v[64:65], v[166:167], v[64:65]
	s_delay_alu instid0(VALU_DEP_2) | instskip(SKIP_1) | instid1(VALU_DEP_2)
	v_fma_f64 v[189:190], v[54:55], s[54:55], v[187:188]
	v_fma_f64 v[166:167], v[54:55], s[8:9], v[187:188]
	v_add_f64 v[172:173], v[189:190], v[172:173]
	v_mul_f64 v[189:190], v[128:129], s[38:39]
	s_delay_alu instid0(VALU_DEP_3) | instskip(NEXT) | instid1(VALU_DEP_2)
	v_add_f64 v[164:165], v[166:167], v[164:165]
	v_fma_f64 v[191:192], v[124:125], s[40:41], v[189:190]
	v_fma_f64 v[166:167], v[124:125], s[40:41], -v[189:190]
	s_delay_alu instid0(VALU_DEP_2) | instskip(SKIP_1) | instid1(VALU_DEP_3)
	v_add_f64 v[174:175], v[191:192], v[174:175]
	v_mul_f64 v[191:192], v[130:131], s[40:41]
	v_add_f64 v[64:65], v[166:167], v[64:65]
	s_delay_alu instid0(VALU_DEP_2) | instskip(SKIP_1) | instid1(VALU_DEP_2)
	v_fma_f64 v[193:194], v[126:127], s[52:53], v[191:192]
	v_fma_f64 v[166:167], v[126:127], s[38:39], v[191:192]
	v_add_f64 v[172:173], v[193:194], v[172:173]
	v_mul_f64 v[193:194], v[144:145], s[48:49]
	s_delay_alu instid0(VALU_DEP_3) | instskip(NEXT) | instid1(VALU_DEP_2)
	;; [unrolled: 13-line block ×4, first 2 shown]
	v_add_f64 v[164:165], v[166:167], v[164:165]
	v_fma_f64 v[203:204], v[168:169], s[18:19], v[201:202]
	v_fma_f64 v[166:167], v[168:169], s[18:19], -v[201:202]
	s_delay_alu instid0(VALU_DEP_2) | instskip(SKIP_1) | instid1(VALU_DEP_3)
	v_add_f64 v[174:175], v[203:204], v[174:175]
	v_mul_f64 v[203:204], v[178:179], s[18:19]
	v_add_f64 v[64:65], v[166:167], v[64:65]
	s_delay_alu instid0(VALU_DEP_2) | instskip(SKIP_1) | instid1(VALU_DEP_2)
	v_fma_f64 v[166:167], v[170:171], s[42:43], v[203:204]
	v_fma_f64 v[207:208], v[170:171], s[28:29], v[203:204]
	v_add_f64 v[166:167], v[166:167], v[164:165]
	v_fma_f64 v[164:165], v[183:184], s[26:27], -v[211:212]
	s_delay_alu instid0(VALU_DEP_3)
	v_add_f64 v[207:208], v[207:208], v[172:173]
	v_fma_f64 v[172:173], v[183:184], s[26:27], v[211:212]
	v_mul_f64 v[211:212], v[205:206], s[16:17]
	v_add_f64 v[166:167], v[181:182], v[166:167]
	v_mul_f64 v[181:182], v[48:49], s[8:9]
	v_add_f64 v[164:165], v[164:165], v[64:65]
	v_add_f64 v[172:173], v[172:173], v[174:175]
	v_fma_f64 v[174:175], v[66:67], s[36:37], v[213:214]
	v_mul_f64 v[213:214], v[209:210], s[30:31]
	v_fma_f64 v[64:65], v[40:41], s[24:25], v[181:182]
	v_fma_f64 v[181:182], v[40:41], s[24:25], -v[181:182]
	s_delay_alu instid0(VALU_DEP_4) | instskip(NEXT) | instid1(VALU_DEP_3)
	v_add_f64 v[174:175], v[174:175], v[207:208]
	v_add_f64 v[64:65], v[64:65], v[160:161]
	v_mul_f64 v[160:161], v[50:51], s[24:25]
	s_delay_alu instid0(VALU_DEP_4) | instskip(SKIP_1) | instid1(VALU_DEP_3)
	v_add_f64 v[154:155], v[181:182], v[154:155]
	v_fma_f64 v[181:182], v[66:67], s[16:17], v[213:214]
	v_fma_f64 v[185:186], v[42:43], s[54:55], v[160:161]
	v_fma_f64 v[160:161], v[42:43], s[8:9], v[160:161]
	s_delay_alu instid0(VALU_DEP_2) | instskip(SKIP_1) | instid1(VALU_DEP_3)
	v_add_f64 v[62:63], v[185:186], v[62:63]
	v_mul_f64 v[185:186], v[112:113], s[52:53]
	v_add_f64 v[152:153], v[160:161], v[152:153]
	s_delay_alu instid0(VALU_DEP_2) | instskip(SKIP_1) | instid1(VALU_DEP_2)
	v_fma_f64 v[187:188], v[52:53], s[40:41], v[185:186]
	v_fma_f64 v[160:161], v[52:53], s[40:41], -v[185:186]
	v_add_f64 v[64:65], v[187:188], v[64:65]
	v_mul_f64 v[187:188], v[114:115], s[40:41]
	s_delay_alu instid0(VALU_DEP_3) | instskip(NEXT) | instid1(VALU_DEP_2)
	v_add_f64 v[154:155], v[160:161], v[154:155]
	v_fma_f64 v[189:190], v[54:55], s[38:39], v[187:188]
	v_fma_f64 v[160:161], v[54:55], s[52:53], v[187:188]
	s_delay_alu instid0(VALU_DEP_2) | instskip(SKIP_1) | instid1(VALU_DEP_3)
	v_add_f64 v[62:63], v[189:190], v[62:63]
	v_mul_f64 v[189:190], v[128:129], s[44:45]
	v_add_f64 v[152:153], v[160:161], v[152:153]
	s_delay_alu instid0(VALU_DEP_2) | instskip(SKIP_1) | instid1(VALU_DEP_2)
	v_fma_f64 v[191:192], v[124:125], s[14:15], v[189:190]
	v_fma_f64 v[160:161], v[124:125], s[14:15], -v[189:190]
	v_add_f64 v[64:65], v[191:192], v[64:65]
	v_mul_f64 v[191:192], v[130:131], s[14:15]
	s_delay_alu instid0(VALU_DEP_3) | instskip(NEXT) | instid1(VALU_DEP_2)
	v_add_f64 v[154:155], v[160:161], v[154:155]
	v_fma_f64 v[193:194], v[126:127], s[2:3], v[191:192]
	v_fma_f64 v[160:161], v[126:127], s[44:45], v[191:192]
	;; [unrolled: 13-line block ×5, first 2 shown]
	s_delay_alu instid0(VALU_DEP_2) | instskip(SKIP_1) | instid1(VALU_DEP_3)
	v_add_f64 v[160:161], v[160:161], v[152:153]
	v_fma_f64 v[152:153], v[183:184], s[30:31], -v[211:212]
	v_add_f64 v[207:208], v[207:208], v[62:63]
	v_fma_f64 v[62:63], v[183:184], s[30:31], v[211:212]
	v_mul_f64 v[211:212], v[205:206], s[50:51]
	s_delay_alu instid0(VALU_DEP_4)
	v_add_f64 v[152:153], v[152:153], v[154:155]
	v_add_f64 v[154:155], v[181:182], v[160:161]
	v_mul_f64 v[160:161], v[48:49], s[38:39]
	v_add_f64 v[62:63], v[62:63], v[64:65]
	v_fma_f64 v[64:65], v[66:67], s[48:49], v[213:214]
	v_mul_f64 v[213:214], v[209:210], s[22:23]
	s_delay_alu instid0(VALU_DEP_4) | instskip(SKIP_1) | instid1(VALU_DEP_4)
	v_fma_f64 v[181:182], v[40:41], s[40:41], v[160:161]
	v_fma_f64 v[160:161], v[40:41], s[40:41], -v[160:161]
	v_add_f64 v[64:65], v[64:65], v[207:208]
	s_delay_alu instid0(VALU_DEP_3) | instskip(SKIP_1) | instid1(VALU_DEP_4)
	v_add_f64 v[150:151], v[181:182], v[150:151]
	v_mul_f64 v[181:182], v[50:51], s[40:41]
	v_add_f64 v[142:143], v[160:161], v[142:143]
	s_delay_alu instid0(VALU_DEP_2) | instskip(SKIP_2) | instid1(VALU_DEP_3)
	v_fma_f64 v[185:186], v[42:43], s[52:53], v[181:182]
	v_fma_f64 v[160:161], v[42:43], s[38:39], v[181:182]
	;; [unrolled: 1-line block ×3, first 2 shown]
	v_add_f64 v[148:149], v[185:186], v[148:149]
	v_mul_f64 v[185:186], v[112:113], s[44:45]
	s_delay_alu instid0(VALU_DEP_4) | instskip(NEXT) | instid1(VALU_DEP_2)
	v_add_f64 v[140:141], v[160:161], v[140:141]
	v_fma_f64 v[187:188], v[52:53], s[14:15], v[185:186]
	v_fma_f64 v[160:161], v[52:53], s[14:15], -v[185:186]
	s_delay_alu instid0(VALU_DEP_2) | instskip(SKIP_1) | instid1(VALU_DEP_3)
	v_add_f64 v[150:151], v[187:188], v[150:151]
	v_mul_f64 v[187:188], v[114:115], s[14:15]
	v_add_f64 v[142:143], v[160:161], v[142:143]
	s_delay_alu instid0(VALU_DEP_2) | instskip(SKIP_1) | instid1(VALU_DEP_2)
	v_fma_f64 v[189:190], v[54:55], s[2:3], v[187:188]
	v_fma_f64 v[160:161], v[54:55], s[44:45], v[187:188]
	v_add_f64 v[148:149], v[189:190], v[148:149]
	v_mul_f64 v[189:190], v[128:129], s[46:47]
	s_delay_alu instid0(VALU_DEP_3) | instskip(NEXT) | instid1(VALU_DEP_2)
	v_add_f64 v[140:141], v[160:161], v[140:141]
	v_fma_f64 v[191:192], v[124:125], s[26:27], v[189:190]
	v_fma_f64 v[160:161], v[124:125], s[26:27], -v[189:190]
	s_delay_alu instid0(VALU_DEP_2) | instskip(SKIP_1) | instid1(VALU_DEP_3)
	v_add_f64 v[150:151], v[191:192], v[150:151]
	v_mul_f64 v[191:192], v[130:131], s[26:27]
	v_add_f64 v[142:143], v[160:161], v[142:143]
	s_delay_alu instid0(VALU_DEP_2) | instskip(SKIP_1) | instid1(VALU_DEP_2)
	v_fma_f64 v[193:194], v[126:127], s[36:37], v[191:192]
	v_fma_f64 v[160:161], v[126:127], s[46:47], v[191:192]
	v_add_f64 v[148:149], v[193:194], v[148:149]
	v_mul_f64 v[193:194], v[144:145], s[28:29]
	s_delay_alu instid0(VALU_DEP_3) | instskip(NEXT) | instid1(VALU_DEP_2)
	v_add_f64 v[140:141], v[160:161], v[140:141]
	v_fma_f64 v[195:196], v[136:137], s[18:19], v[193:194]
	v_fma_f64 v[160:161], v[136:137], s[18:19], -v[193:194]
	s_delay_alu instid0(VALU_DEP_2) | instskip(SKIP_1) | instid1(VALU_DEP_3)
	v_add_f64 v[150:151], v[195:196], v[150:151]
	v_mul_f64 v[195:196], v[146:147], s[18:19]
	v_add_f64 v[142:143], v[160:161], v[142:143]
	s_delay_alu instid0(VALU_DEP_2) | instskip(SKIP_1) | instid1(VALU_DEP_2)
	v_fma_f64 v[197:198], v[138:139], s[42:43], v[195:196]
	v_fma_f64 v[160:161], v[138:139], s[28:29], v[195:196]
	v_add_f64 v[148:149], v[197:198], v[148:149]
	v_mul_f64 v[197:198], v[158:159], s[16:17]
	s_delay_alu instid0(VALU_DEP_3) | instskip(NEXT) | instid1(VALU_DEP_2)
	v_add_f64 v[140:141], v[160:161], v[140:141]
	v_fma_f64 v[199:200], v[156:157], s[30:31], v[197:198]
	v_fma_f64 v[160:161], v[156:157], s[30:31], -v[197:198]
	s_delay_alu instid0(VALU_DEP_2) | instskip(SKIP_1) | instid1(VALU_DEP_3)
	v_add_f64 v[150:151], v[199:200], v[150:151]
	v_mul_f64 v[199:200], v[162:163], s[30:31]
	v_add_f64 v[142:143], v[160:161], v[142:143]
	s_delay_alu instid0(VALU_DEP_2) | instskip(SKIP_1) | instid1(VALU_DEP_2)
	v_fma_f64 v[201:202], v[60:61], s[48:49], v[199:200]
	v_fma_f64 v[160:161], v[60:61], s[16:17], v[199:200]
	v_add_f64 v[148:149], v[201:202], v[148:149]
	v_mul_f64 v[201:202], v[176:177], s[54:55]
	s_delay_alu instid0(VALU_DEP_3) | instskip(NEXT) | instid1(VALU_DEP_2)
	v_add_f64 v[140:141], v[160:161], v[140:141]
	v_fma_f64 v[203:204], v[168:169], s[24:25], v[201:202]
	v_fma_f64 v[160:161], v[168:169], s[24:25], -v[201:202]
	s_delay_alu instid0(VALU_DEP_2) | instskip(SKIP_1) | instid1(VALU_DEP_3)
	v_add_f64 v[150:151], v[203:204], v[150:151]
	v_mul_f64 v[203:204], v[178:179], s[24:25]
	v_add_f64 v[142:143], v[160:161], v[142:143]
	s_delay_alu instid0(VALU_DEP_2) | instskip(SKIP_1) | instid1(VALU_DEP_2)
	v_fma_f64 v[160:161], v[170:171], s[54:55], v[203:204]
	v_fma_f64 v[207:208], v[170:171], s[8:9], v[203:204]
	v_add_f64 v[160:161], v[160:161], v[140:141]
	v_fma_f64 v[140:141], v[183:184], s[22:23], -v[211:212]
	s_delay_alu instid0(VALU_DEP_3) | instskip(SKIP_2) | instid1(VALU_DEP_4)
	v_add_f64 v[207:208], v[207:208], v[148:149]
	v_fma_f64 v[148:149], v[183:184], s[22:23], v[211:212]
	v_mul_f64 v[211:212], v[205:206], s[8:9]
	v_add_f64 v[140:141], v[140:141], v[142:143]
	v_add_f64 v[142:143], v[181:182], v[160:161]
	v_mul_f64 v[160:161], v[48:49], s[48:49]
	v_add_f64 v[148:149], v[148:149], v[150:151]
	v_fma_f64 v[150:151], v[66:67], s[34:35], v[213:214]
	v_mul_f64 v[213:214], v[209:210], s[24:25]
	s_delay_alu instid0(VALU_DEP_4) | instskip(SKIP_1) | instid1(VALU_DEP_4)
	v_fma_f64 v[181:182], v[40:41], s[30:31], v[160:161]
	v_fma_f64 v[160:161], v[40:41], s[30:31], -v[160:161]
	v_add_f64 v[150:151], v[150:151], v[207:208]
	s_delay_alu instid0(VALU_DEP_3) | instskip(SKIP_1) | instid1(VALU_DEP_4)
	v_add_f64 v[134:135], v[181:182], v[134:135]
	v_mul_f64 v[181:182], v[50:51], s[30:31]
	v_add_f64 v[58:59], v[160:161], v[58:59]
	s_delay_alu instid0(VALU_DEP_2) | instskip(SKIP_2) | instid1(VALU_DEP_3)
	v_fma_f64 v[185:186], v[42:43], s[16:17], v[181:182]
	v_fma_f64 v[160:161], v[42:43], s[48:49], v[181:182]
	;; [unrolled: 1-line block ×3, first 2 shown]
	v_add_f64 v[132:133], v[185:186], v[132:133]
	v_mul_f64 v[185:186], v[112:113], s[50:51]
	s_delay_alu instid0(VALU_DEP_4) | instskip(NEXT) | instid1(VALU_DEP_2)
	v_add_f64 v[56:57], v[160:161], v[56:57]
	v_fma_f64 v[187:188], v[52:53], s[22:23], v[185:186]
	v_fma_f64 v[160:161], v[52:53], s[22:23], -v[185:186]
	s_delay_alu instid0(VALU_DEP_2) | instskip(SKIP_1) | instid1(VALU_DEP_3)
	v_add_f64 v[134:135], v[187:188], v[134:135]
	v_mul_f64 v[187:188], v[114:115], s[22:23]
	v_add_f64 v[58:59], v[160:161], v[58:59]
	s_delay_alu instid0(VALU_DEP_2) | instskip(SKIP_1) | instid1(VALU_DEP_2)
	v_fma_f64 v[189:190], v[54:55], s[34:35], v[187:188]
	v_fma_f64 v[160:161], v[54:55], s[50:51], v[187:188]
	v_add_f64 v[132:133], v[189:190], v[132:133]
	v_mul_f64 v[189:190], v[128:129], s[28:29]
	s_delay_alu instid0(VALU_DEP_3) | instskip(NEXT) | instid1(VALU_DEP_2)
	v_add_f64 v[56:57], v[160:161], v[56:57]
	v_fma_f64 v[191:192], v[124:125], s[18:19], v[189:190]
	v_fma_f64 v[160:161], v[124:125], s[18:19], -v[189:190]
	s_delay_alu instid0(VALU_DEP_2) | instskip(SKIP_1) | instid1(VALU_DEP_3)
	v_add_f64 v[134:135], v[191:192], v[134:135]
	v_mul_f64 v[191:192], v[130:131], s[18:19]
	v_add_f64 v[58:59], v[160:161], v[58:59]
	s_delay_alu instid0(VALU_DEP_2) | instskip(SKIP_1) | instid1(VALU_DEP_2)
	v_fma_f64 v[193:194], v[126:127], s[42:43], v[191:192]
	v_fma_f64 v[160:161], v[126:127], s[28:29], v[191:192]
	v_add_f64 v[132:133], v[193:194], v[132:133]
	v_mul_f64 v[193:194], v[144:145], s[38:39]
	s_delay_alu instid0(VALU_DEP_3) | instskip(NEXT) | instid1(VALU_DEP_2)
	;; [unrolled: 13-line block ×4, first 2 shown]
	v_add_f64 v[56:57], v[160:161], v[56:57]
	v_fma_f64 v[203:204], v[168:169], s[26:27], v[201:202]
	v_fma_f64 v[160:161], v[168:169], s[26:27], -v[201:202]
	s_delay_alu instid0(VALU_DEP_2) | instskip(SKIP_1) | instid1(VALU_DEP_3)
	v_add_f64 v[134:135], v[203:204], v[134:135]
	v_mul_f64 v[203:204], v[178:179], s[26:27]
	v_add_f64 v[58:59], v[160:161], v[58:59]
	s_delay_alu instid0(VALU_DEP_2) | instskip(SKIP_1) | instid1(VALU_DEP_2)
	v_fma_f64 v[160:161], v[170:171], s[36:37], v[203:204]
	v_fma_f64 v[207:208], v[170:171], s[46:47], v[203:204]
	v_add_f64 v[160:161], v[160:161], v[56:57]
	v_fma_f64 v[56:57], v[183:184], s[24:25], -v[211:212]
	s_delay_alu instid0(VALU_DEP_3) | instskip(SKIP_2) | instid1(VALU_DEP_4)
	v_add_f64 v[207:208], v[207:208], v[132:133]
	v_fma_f64 v[132:133], v[183:184], s[24:25], v[211:212]
	v_mul_f64 v[211:212], v[205:206], s[42:43]
	v_add_f64 v[56:57], v[56:57], v[58:59]
	v_add_f64 v[58:59], v[181:182], v[160:161]
	v_mul_f64 v[160:161], v[48:49], s[44:45]
	v_add_f64 v[132:133], v[132:133], v[134:135]
	v_fma_f64 v[134:135], v[66:67], s[54:55], v[213:214]
	v_mul_f64 v[213:214], v[209:210], s[18:19]
	s_delay_alu instid0(VALU_DEP_4) | instskip(SKIP_1) | instid1(VALU_DEP_4)
	v_fma_f64 v[181:182], v[40:41], s[14:15], v[160:161]
	v_fma_f64 v[160:161], v[40:41], s[14:15], -v[160:161]
	v_add_f64 v[134:135], v[134:135], v[207:208]
	s_delay_alu instid0(VALU_DEP_3) | instskip(SKIP_1) | instid1(VALU_DEP_4)
	v_add_f64 v[122:123], v[181:182], v[122:123]
	v_mul_f64 v[181:182], v[50:51], s[14:15]
	v_add_f64 v[118:119], v[160:161], v[118:119]
	s_delay_alu instid0(VALU_DEP_2) | instskip(SKIP_2) | instid1(VALU_DEP_3)
	v_fma_f64 v[185:186], v[42:43], s[2:3], v[181:182]
	v_fma_f64 v[160:161], v[42:43], s[44:45], v[181:182]
	;; [unrolled: 1-line block ×3, first 2 shown]
	v_add_f64 v[120:121], v[185:186], v[120:121]
	v_mul_f64 v[185:186], v[112:113], s[36:37]
	s_delay_alu instid0(VALU_DEP_4) | instskip(NEXT) | instid1(VALU_DEP_2)
	v_add_f64 v[116:117], v[160:161], v[116:117]
	v_fma_f64 v[187:188], v[52:53], s[26:27], v[185:186]
	v_fma_f64 v[160:161], v[52:53], s[26:27], -v[185:186]
	s_delay_alu instid0(VALU_DEP_2) | instskip(SKIP_1) | instid1(VALU_DEP_3)
	v_add_f64 v[122:123], v[187:188], v[122:123]
	v_mul_f64 v[187:188], v[114:115], s[26:27]
	v_add_f64 v[118:119], v[160:161], v[118:119]
	s_delay_alu instid0(VALU_DEP_2) | instskip(SKIP_1) | instid1(VALU_DEP_2)
	v_fma_f64 v[189:190], v[54:55], s[46:47], v[187:188]
	v_fma_f64 v[160:161], v[54:55], s[36:37], v[187:188]
	v_add_f64 v[120:121], v[189:190], v[120:121]
	v_mul_f64 v[189:190], v[128:129], s[16:17]
	s_delay_alu instid0(VALU_DEP_3) | instskip(NEXT) | instid1(VALU_DEP_2)
	v_add_f64 v[116:117], v[160:161], v[116:117]
	v_fma_f64 v[191:192], v[124:125], s[30:31], v[189:190]
	v_fma_f64 v[160:161], v[124:125], s[30:31], -v[189:190]
	s_delay_alu instid0(VALU_DEP_2) | instskip(SKIP_1) | instid1(VALU_DEP_3)
	v_add_f64 v[122:123], v[191:192], v[122:123]
	v_mul_f64 v[191:192], v[130:131], s[30:31]
	v_add_f64 v[118:119], v[160:161], v[118:119]
	s_delay_alu instid0(VALU_DEP_2) | instskip(SKIP_1) | instid1(VALU_DEP_2)
	v_fma_f64 v[193:194], v[126:127], s[48:49], v[191:192]
	v_fma_f64 v[160:161], v[126:127], s[16:17], v[191:192]
	v_add_f64 v[120:121], v[193:194], v[120:121]
	v_mul_f64 v[193:194], v[144:145], s[56:57]
	s_delay_alu instid0(VALU_DEP_3) | instskip(NEXT) | instid1(VALU_DEP_2)
	;; [unrolled: 13-line block ×4, first 2 shown]
	v_add_f64 v[116:117], v[160:161], v[116:117]
	v_fma_f64 v[203:204], v[168:169], s[40:41], v[201:202]
	v_fma_f64 v[160:161], v[168:169], s[40:41], -v[201:202]
	s_delay_alu instid0(VALU_DEP_2) | instskip(SKIP_1) | instid1(VALU_DEP_3)
	v_add_f64 v[122:123], v[203:204], v[122:123]
	v_mul_f64 v[203:204], v[178:179], s[40:41]
	v_add_f64 v[118:119], v[160:161], v[118:119]
	s_delay_alu instid0(VALU_DEP_2) | instskip(SKIP_1) | instid1(VALU_DEP_2)
	v_fma_f64 v[160:161], v[170:171], s[38:39], v[203:204]
	v_fma_f64 v[207:208], v[170:171], s[52:53], v[203:204]
	v_add_f64 v[160:161], v[160:161], v[116:117]
	v_fma_f64 v[116:117], v[183:184], s[18:19], -v[211:212]
	s_delay_alu instid0(VALU_DEP_3) | instskip(SKIP_2) | instid1(VALU_DEP_4)
	v_add_f64 v[207:208], v[207:208], v[120:121]
	v_fma_f64 v[120:121], v[183:184], s[18:19], v[211:212]
	v_mul_f64 v[211:212], v[205:206], s[2:3]
	v_add_f64 v[116:117], v[116:117], v[118:119]
	v_add_f64 v[118:119], v[181:182], v[160:161]
	v_mul_f64 v[160:161], v[48:49], s[42:43]
	v_add_f64 v[120:121], v[120:121], v[122:123]
	v_fma_f64 v[122:123], v[66:67], s[28:29], v[213:214]
	v_mul_f64 v[213:214], v[209:210], s[14:15]
	v_mul_f64 v[48:49], v[48:49], s[46:47]
	v_fma_f64 v[181:182], v[40:41], s[18:19], v[160:161]
	v_fma_f64 v[160:161], v[40:41], s[18:19], -v[160:161]
	v_add_f64 v[122:123], v[122:123], v[207:208]
	s_delay_alu instid0(VALU_DEP_3) | instskip(SKIP_1) | instid1(VALU_DEP_4)
	v_add_f64 v[110:111], v[181:182], v[110:111]
	v_mul_f64 v[181:182], v[50:51], s[18:19]
	v_add_f64 v[106:107], v[160:161], v[106:107]
	v_mul_f64 v[50:51], v[50:51], s[26:27]
	s_delay_alu instid0(VALU_DEP_3) | instskip(SKIP_2) | instid1(VALU_DEP_3)
	v_fma_f64 v[185:186], v[42:43], s[28:29], v[181:182]
	v_fma_f64 v[160:161], v[42:43], s[42:43], v[181:182]
	;; [unrolled: 1-line block ×3, first 2 shown]
	v_add_f64 v[108:109], v[185:186], v[108:109]
	v_mul_f64 v[185:186], v[112:113], s[20:21]
	s_delay_alu instid0(VALU_DEP_4) | instskip(SKIP_1) | instid1(VALU_DEP_3)
	v_add_f64 v[104:105], v[160:161], v[104:105]
	v_mul_f64 v[112:113], v[112:113], s[16:17]
	v_fma_f64 v[187:188], v[52:53], s[12:13], v[185:186]
	v_fma_f64 v[160:161], v[52:53], s[12:13], -v[185:186]
	v_mul_f64 v[185:186], v[209:210], s[12:13]
	s_delay_alu instid0(VALU_DEP_3) | instskip(SKIP_1) | instid1(VALU_DEP_4)
	v_add_f64 v[110:111], v[187:188], v[110:111]
	v_mul_f64 v[187:188], v[114:115], s[12:13]
	v_add_f64 v[106:107], v[160:161], v[106:107]
	v_mul_f64 v[114:115], v[114:115], s[30:31]
	s_delay_alu instid0(VALU_DEP_3) | instskip(SKIP_1) | instid1(VALU_DEP_2)
	v_fma_f64 v[189:190], v[54:55], s[56:57], v[187:188]
	v_fma_f64 v[160:161], v[54:55], s[20:21], v[187:188]
	v_add_f64 v[108:109], v[189:190], v[108:109]
	v_mul_f64 v[189:190], v[128:129], s[54:55]
	s_delay_alu instid0(VALU_DEP_3) | instskip(SKIP_1) | instid1(VALU_DEP_3)
	v_add_f64 v[104:105], v[160:161], v[104:105]
	v_mul_f64 v[128:129], v[128:129], s[50:51]
	v_fma_f64 v[191:192], v[124:125], s[24:25], v[189:190]
	v_fma_f64 v[160:161], v[124:125], s[24:25], -v[189:190]
	s_delay_alu instid0(VALU_DEP_2) | instskip(SKIP_1) | instid1(VALU_DEP_3)
	v_add_f64 v[110:111], v[191:192], v[110:111]
	v_mul_f64 v[191:192], v[130:131], s[24:25]
	v_add_f64 v[106:107], v[160:161], v[106:107]
	v_mul_f64 v[130:131], v[130:131], s[22:23]
	s_delay_alu instid0(VALU_DEP_3) | instskip(SKIP_1) | instid1(VALU_DEP_2)
	v_fma_f64 v[193:194], v[126:127], s[8:9], v[191:192]
	v_fma_f64 v[160:161], v[126:127], s[54:55], v[191:192]
	v_add_f64 v[108:109], v[193:194], v[108:109]
	v_mul_f64 v[193:194], v[144:145], s[36:37]
	s_delay_alu instid0(VALU_DEP_3) | instskip(SKIP_1) | instid1(VALU_DEP_3)
	v_add_f64 v[104:105], v[160:161], v[104:105]
	v_mul_f64 v[144:145], v[144:145], s[8:9]
	v_fma_f64 v[195:196], v[136:137], s[26:27], v[193:194]
	v_fma_f64 v[160:161], v[136:137], s[26:27], -v[193:194]
	s_delay_alu instid0(VALU_DEP_2) | instskip(SKIP_1) | instid1(VALU_DEP_3)
	;; [unrolled: 15-line block ×3, first 2 shown]
	v_add_f64 v[110:111], v[199:200], v[110:111]
	v_mul_f64 v[199:200], v[162:163], s[40:41]
	v_add_f64 v[106:107], v[160:161], v[106:107]
	s_delay_alu instid0(VALU_DEP_2) | instskip(SKIP_1) | instid1(VALU_DEP_2)
	v_fma_f64 v[201:202], v[60:61], s[52:53], v[199:200]
	v_fma_f64 v[160:161], v[60:61], s[38:39], v[199:200]
	v_add_f64 v[108:109], v[201:202], v[108:109]
	v_mul_f64 v[201:202], v[176:177], s[50:51]
	s_delay_alu instid0(VALU_DEP_3) | instskip(NEXT) | instid1(VALU_DEP_2)
	v_add_f64 v[104:105], v[160:161], v[104:105]
	v_fma_f64 v[203:204], v[168:169], s[22:23], v[201:202]
	v_fma_f64 v[160:161], v[168:169], s[22:23], -v[201:202]
	s_delay_alu instid0(VALU_DEP_2) | instskip(SKIP_1) | instid1(VALU_DEP_3)
	v_add_f64 v[110:111], v[203:204], v[110:111]
	v_mul_f64 v[203:204], v[178:179], s[22:23]
	v_add_f64 v[106:107], v[160:161], v[106:107]
	s_delay_alu instid0(VALU_DEP_2) | instskip(SKIP_1) | instid1(VALU_DEP_2)
	v_fma_f64 v[160:161], v[170:171], s[50:51], v[203:204]
	v_fma_f64 v[207:208], v[170:171], s[34:35], v[203:204]
	v_add_f64 v[160:161], v[160:161], v[104:105]
	v_fma_f64 v[104:105], v[183:184], s[14:15], -v[211:212]
	s_delay_alu instid0(VALU_DEP_3) | instskip(SKIP_1) | instid1(VALU_DEP_3)
	v_add_f64 v[207:208], v[207:208], v[108:109]
	v_fma_f64 v[108:109], v[183:184], s[14:15], v[211:212]
	v_add_f64 v[104:105], v[104:105], v[106:107]
	v_add_f64 v[106:107], v[181:182], v[160:161]
	v_fma_f64 v[160:161], v[40:41], s[26:27], v[48:49]
	v_fma_f64 v[40:41], v[40:41], s[26:27], -v[48:49]
	v_fma_f64 v[48:49], v[52:53], s[30:31], -v[112:113]
	v_mul_f64 v[181:182], v[205:206], s[56:57]
	v_add_f64 v[108:109], v[108:109], v[110:111]
	v_fma_f64 v[110:111], v[66:67], s[44:45], v[213:214]
	v_add_f64 v[46:47], v[160:161], v[46:47]
	v_fma_f64 v[160:161], v[42:43], s[36:37], v[50:51]
	v_fma_f64 v[42:43], v[42:43], s[46:47], v[50:51]
	v_fma_f64 v[50:51], v[54:55], s[16:17], v[114:115]
	v_add_f64 v[36:37], v[40:41], v[36:37]
	v_fma_f64 v[40:41], v[124:125], s[22:23], -v[128:129]
	v_add_f64 v[110:111], v[110:111], v[207:208]
	v_add_f64 v[44:45], v[160:161], v[44:45]
	v_fma_f64 v[160:161], v[52:53], s[30:31], v[112:113]
	v_add_f64 v[38:39], v[42:43], v[38:39]
	v_fma_f64 v[42:43], v[126:127], s[50:51], v[130:131]
	v_add_f64 v[36:37], v[48:49], v[36:37]
	v_fma_f64 v[48:49], v[136:137], s[24:25], -v[144:145]
	v_add_f64 v[46:47], v[160:161], v[46:47]
	v_fma_f64 v[160:161], v[54:55], s[48:49], v[114:115]
	v_add_f64 v[38:39], v[50:51], v[38:39]
	v_fma_f64 v[50:51], v[138:139], s[8:9], v[146:147]
	v_add_f64 v[36:37], v[40:41], v[36:37]
	v_fma_f64 v[40:41], v[156:157], s[18:19], -v[158:159]
	v_add_f64 v[44:45], v[160:161], v[44:45]
	v_fma_f64 v[160:161], v[124:125], s[22:23], v[128:129]
	v_add_f64 v[38:39], v[42:43], v[38:39]
	v_add_f64 v[36:37], v[48:49], v[36:37]
	s_delay_alu instid0(VALU_DEP_3) | instskip(SKIP_1) | instid1(VALU_DEP_4)
	v_add_f64 v[46:47], v[160:161], v[46:47]
	v_fma_f64 v[160:161], v[126:127], s[34:35], v[130:131]
	v_add_f64 v[38:39], v[50:51], v[38:39]
	s_delay_alu instid0(VALU_DEP_4) | instskip(SKIP_1) | instid1(VALU_DEP_4)
	v_add_f64 v[36:37], v[40:41], v[36:37]
	v_fma_f64 v[40:41], v[183:184], s[12:13], -v[181:182]
	v_add_f64 v[44:45], v[160:161], v[44:45]
	v_fma_f64 v[160:161], v[136:137], s[24:25], v[144:145]
	s_delay_alu instid0(VALU_DEP_1) | instskip(SKIP_1) | instid1(VALU_DEP_1)
	v_add_f64 v[46:47], v[160:161], v[46:47]
	v_fma_f64 v[160:161], v[138:139], s[54:55], v[146:147]
	v_add_f64 v[44:45], v[160:161], v[44:45]
	v_fma_f64 v[160:161], v[156:157], s[18:19], v[158:159]
	s_delay_alu instid0(VALU_DEP_1) | instskip(SKIP_1) | instid1(VALU_DEP_1)
	v_add_f64 v[46:47], v[160:161], v[46:47]
	v_mul_f64 v[160:161], v[162:163], s[18:19]
	v_fma_f64 v[162:163], v[60:61], s[28:29], v[160:161]
	v_fma_f64 v[42:43], v[60:61], s[42:43], v[160:161]
	s_delay_alu instid0(VALU_DEP_2) | instskip(SKIP_1) | instid1(VALU_DEP_3)
	v_add_f64 v[44:45], v[162:163], v[44:45]
	v_mul_f64 v[162:163], v[176:177], s[2:3]
	v_add_f64 v[38:39], v[42:43], v[38:39]
	v_fma_f64 v[42:43], v[66:67], s[56:57], v[185:186]
	s_delay_alu instid0(VALU_DEP_3) | instskip(SKIP_1) | instid1(VALU_DEP_2)
	v_fma_f64 v[176:177], v[168:169], s[14:15], v[162:163]
	v_fma_f64 v[48:49], v[168:169], s[14:15], -v[162:163]
	v_add_f64 v[46:47], v[176:177], v[46:47]
	v_mul_f64 v[176:177], v[178:179], s[14:15]
	s_delay_alu instid0(VALU_DEP_3) | instskip(NEXT) | instid1(VALU_DEP_2)
	v_add_f64 v[36:37], v[48:49], v[36:37]
	v_fma_f64 v[178:179], v[170:171], s[44:45], v[176:177]
	v_fma_f64 v[50:51], v[170:171], s[2:3], v[176:177]
	s_delay_alu instid0(VALU_DEP_3) | instskip(SKIP_2) | instid1(SALU_CYCLE_1)
	v_add_f64 v[36:37], v[40:41], v[36:37]
	s_mul_i32 s2, s5, 0x110
	s_mul_hi_u32 s3, s4, 0x110
	s_add_i32 s3, s3, s2
	s_delay_alu instid0(VALU_DEP_3) | instskip(SKIP_1) | instid1(VALU_DEP_4)
	v_add_f64 v[178:179], v[178:179], v[44:45]
	v_fma_f64 v[44:45], v[183:184], s[12:13], v[181:182]
	v_add_f64 v[38:39], v[50:51], v[38:39]
	s_delay_alu instid0(VALU_DEP_2) | instskip(SKIP_1) | instid1(VALU_DEP_3)
	v_add_f64 v[44:45], v[44:45], v[46:47]
	v_fma_f64 v[46:47], v[66:67], s[20:21], v[185:186]
	v_add_f64 v[38:39], v[42:43], v[38:39]
	s_delay_alu instid0(VALU_DEP_2)
	v_add_f64 v[46:47], v[46:47], v[178:179]
	ds_store_b128 v180, v[68:71] offset:272
	ds_store_b128 v180, v[172:175] offset:544
	;; [unrolled: 1-line block ×16, first 2 shown]
	ds_store_b128 v180, v[0:3]
	s_waitcnt lgkmcnt(0)
	s_barrier
	buffer_gl0_inv
	s_clause 0x4
	scratch_load_b128 v[6:9], off, off offset:240
	scratch_load_b128 v[10:13], off, off offset:176
	;; [unrolled: 1-line block ×5, first 2 shown]
	ds_load_b128 v[0:3], v180
	s_clause 0xa
	scratch_load_b128 v[26:29], off, off offset:32
	scratch_load_b128 v[46:49], off, off offset:48
	;; [unrolled: 1-line block ×9, first 2 shown]
	scratch_load_b128 v[70:73], off, off
	scratch_load_b32 v74, off, off offset:256
	s_waitcnt lgkmcnt(0)
	v_mul_f64 v[4:5], v[245:246], v[2:3]
	s_delay_alu instid0(VALU_DEP_1) | instskip(SKIP_1) | instid1(VALU_DEP_1)
	v_fma_f64 v[68:69], v[243:244], v[0:1], v[4:5]
	v_mul_f64 v[0:1], v[245:246], v[0:1]
	v_fma_f64 v[64:65], v[243:244], v[2:3], -v[0:1]
	ds_load_b128 v[2:5], v180 offset:272
	s_waitcnt vmcnt(15) lgkmcnt(0)
	v_mul_f64 v[0:1], v[8:9], v[4:5]
	s_delay_alu instid0(VALU_DEP_1) | instskip(SKIP_1) | instid1(VALU_DEP_1)
	v_fma_f64 v[0:1], v[6:7], v[2:3], v[0:1]
	v_mul_f64 v[2:3], v[8:9], v[2:3]
	v_fma_f64 v[2:3], v[6:7], v[4:5], -v[2:3]
	ds_load_b128 v[6:9], v180 offset:544
	s_waitcnt vmcnt(14) lgkmcnt(0)
	;; [unrolled: 7-line block ×4, first 2 shown]
	v_mul_f64 v[12:13], v[20:21], v[16:17]
	s_delay_alu instid0(VALU_DEP_1) | instskip(SKIP_1) | instid1(VALU_DEP_1)
	v_fma_f64 v[12:13], v[18:19], v[14:15], v[12:13]
	v_mul_f64 v[14:15], v[20:21], v[14:15]
	v_fma_f64 v[14:15], v[18:19], v[16:17], -v[14:15]
	ds_load_b128 v[18:21], v180 offset:1360
	s_waitcnt lgkmcnt(0)
	v_mul_f64 v[16:17], v[24:25], v[20:21]
	s_delay_alu instid0(VALU_DEP_1) | instskip(SKIP_1) | instid1(VALU_DEP_1)
	v_fma_f64 v[16:17], v[22:23], v[18:19], v[16:17]
	v_mul_f64 v[18:19], v[24:25], v[18:19]
	v_fma_f64 v[18:19], v[22:23], v[20:21], -v[18:19]
	ds_load_b128 v[20:23], v180 offset:1632
	s_waitcnt vmcnt(10) lgkmcnt(0)
	v_mul_f64 v[24:25], v[28:29], v[22:23]
	s_delay_alu instid0(VALU_DEP_1) | instskip(SKIP_1) | instid1(VALU_DEP_1)
	v_fma_f64 v[24:25], v[26:27], v[20:21], v[24:25]
	v_mul_f64 v[20:21], v[28:29], v[20:21]
	v_fma_f64 v[26:27], v[26:27], v[22:23], -v[20:21]
	ds_load_b128 v[20:23], v180 offset:1904
	s_waitcnt vmcnt(8) lgkmcnt(0)
	;; [unrolled: 7-line block ×5, first 2 shown]
	v_mul_f64 v[40:41], v[44:45], v[22:23]
	s_delay_alu instid0(VALU_DEP_1) | instskip(SKIP_1) | instid1(VALU_DEP_1)
	v_fma_f64 v[40:41], v[42:43], v[20:21], v[40:41]
	v_mul_f64 v[20:21], v[44:45], v[20:21]
	v_fma_f64 v[42:43], v[42:43], v[22:23], -v[20:21]
	ds_load_b128 v[20:23], v180 offset:2992
	s_waitcnt lgkmcnt(0)
	v_mul_f64 v[44:45], v[48:49], v[22:23]
	s_delay_alu instid0(VALU_DEP_1) | instskip(SKIP_1) | instid1(VALU_DEP_1)
	v_fma_f64 v[44:45], v[46:47], v[20:21], v[44:45]
	v_mul_f64 v[20:21], v[48:49], v[20:21]
	v_fma_f64 v[46:47], v[46:47], v[22:23], -v[20:21]
	ds_load_b128 v[20:23], v180 offset:3264
	s_waitcnt lgkmcnt(0)
	;; [unrolled: 7-line block ×4, first 2 shown]
	v_mul_f64 v[56:57], v[60:61], v[22:23]
	s_delay_alu instid0(VALU_DEP_1) | instskip(SKIP_1) | instid1(VALU_DEP_1)
	v_fma_f64 v[56:57], v[58:59], v[20:21], v[56:57]
	v_mul_f64 v[20:21], v[60:61], v[20:21]
	v_fma_f64 v[58:59], v[58:59], v[22:23], -v[20:21]
	ds_load_b128 v[20:23], v180 offset:4080
	s_waitcnt vmcnt(1) lgkmcnt(0)
	v_mul_f64 v[60:61], v[72:73], v[22:23]
	s_delay_alu instid0(VALU_DEP_1) | instskip(SKIP_1) | instid1(VALU_DEP_1)
	v_fma_f64 v[60:61], v[70:71], v[20:21], v[60:61]
	v_mul_f64 v[20:21], v[72:73], v[20:21]
	v_fma_f64 v[62:63], v[70:71], v[22:23], -v[20:21]
	scratch_load_b128 v[70:73], off, off offset:224 ; 16-byte Folded Reload
	ds_load_b128 v[20:23], v180 offset:4352
	s_waitcnt vmcnt(0) lgkmcnt(0)
	v_mul_f64 v[66:67], v[72:73], v[22:23]
	s_delay_alu instid0(VALU_DEP_1) | instskip(SKIP_1) | instid1(VALU_DEP_1)
	v_fma_f64 v[66:67], v[70:71], v[20:21], v[66:67]
	v_mul_f64 v[20:21], v[72:73], v[20:21]
	v_fma_f64 v[70:71], v[70:71], v[22:23], -v[20:21]
	v_mad_u64_u32 v[20:21], null, s6, v247, 0
	s_delay_alu instid0(VALU_DEP_1) | instskip(NEXT) | instid1(VALU_DEP_1)
	v_mad_u64_u32 v[22:23], null, s7, v247, v[21:22]
	v_mov_b32_e32 v21, v22
	v_mad_u64_u32 v[22:23], null, s4, v74, 0
	s_mulk_i32 s4, 0x110
	s_delay_alu instid0(VALU_DEP_2) | instskip(NEXT) | instid1(VALU_DEP_2)
	v_lshlrev_b64 v[20:21], 4, v[20:21]
	v_mad_u64_u32 v[72:73], null, s5, v74, v[23:24]
	s_delay_alu instid0(VALU_DEP_1) | instskip(NEXT) | instid1(VALU_DEP_3)
	v_mov_b32_e32 v23, v72
	v_add_co_u32 v72, vcc_lo, s0, v20
	s_delay_alu instid0(VALU_DEP_4) | instskip(NEXT) | instid1(VALU_DEP_3)
	v_add_co_ci_u32_e32 v73, vcc_lo, s1, v21, vcc_lo
	v_lshlrev_b64 v[20:21], 4, v[22:23]
	s_mov_b32 s0, 0xd10d4986
	s_mov_b32 s1, 0x3f6c5894
	s_delay_alu instid0(SALU_CYCLE_1) | instskip(SKIP_1) | instid1(VALU_DEP_3)
	v_mul_f64 v[22:23], v[64:65], s[0:1]
	v_mul_f64 v[0:1], v[0:1], s[0:1]
	v_add_co_u32 v72, vcc_lo, v72, v20
	v_add_co_ci_u32_e32 v73, vcc_lo, v73, v21, vcc_lo
	v_mul_f64 v[20:21], v[68:69], s[0:1]
	v_mul_f64 v[2:3], v[2:3], s[0:1]
	global_store_b128 v[72:73], v[20:23], off
	v_add_co_u32 v20, vcc_lo, v72, s4
	v_add_co_ci_u32_e32 v21, vcc_lo, s3, v73, vcc_lo
	v_mul_f64 v[22:23], v[58:59], s[0:1]
	global_store_b128 v[20:21], v[0:3], off
	v_mul_f64 v[0:1], v[4:5], s[0:1]
	v_mul_f64 v[2:3], v[6:7], s[0:1]
	v_add_co_u32 v4, vcc_lo, v20, s4
	v_add_co_ci_u32_e32 v5, vcc_lo, s3, v21, vcc_lo
	v_mul_f64 v[6:7], v[42:43], s[0:1]
	v_mul_f64 v[20:21], v[56:57], s[0:1]
	global_store_b128 v[4:5], v[0:3], off
	v_mul_f64 v[0:1], v[8:9], s[0:1]
	v_mul_f64 v[2:3], v[10:11], s[0:1]
	v_add_co_u32 v4, vcc_lo, v4, s4
	v_add_co_ci_u32_e32 v5, vcc_lo, s3, v5, vcc_lo
	v_mul_f64 v[10:11], v[46:47], s[0:1]
	global_store_b128 v[4:5], v[0:3], off
	v_mul_f64 v[0:1], v[12:13], s[0:1]
	v_mul_f64 v[2:3], v[14:15], s[0:1]
	v_add_co_u32 v4, vcc_lo, v4, s4
	v_add_co_ci_u32_e32 v5, vcc_lo, s3, v5, vcc_lo
	v_mul_f64 v[12:13], v[48:49], s[0:1]
	v_mul_f64 v[14:15], v[50:51], s[0:1]
	global_store_b128 v[4:5], v[0:3], off
	v_mul_f64 v[0:1], v[16:17], s[0:1]
	v_mul_f64 v[2:3], v[18:19], s[0:1]
	v_add_co_u32 v4, vcc_lo, v4, s4
	v_add_co_ci_u32_e32 v5, vcc_lo, s3, v5, vcc_lo
	v_mul_f64 v[16:17], v[52:53], s[0:1]
	;; [unrolled: 7-line block ×4, first 2 shown]
	s_delay_alu instid0(VALU_DEP_3) | instskip(NEXT) | instid1(VALU_DEP_3)
	v_add_co_u32 v8, vcc_lo, v4, s4
	v_add_co_ci_u32_e32 v9, vcc_lo, s3, v5, vcc_lo
	v_mul_f64 v[30:31], v[70:71], s[0:1]
	global_store_b128 v[4:5], v[0:3], off
	v_mul_f64 v[0:1], v[32:33], s[0:1]
	v_mul_f64 v[2:3], v[34:35], s[0:1]
	;; [unrolled: 1-line block ×3, first 2 shown]
	v_add_co_u32 v32, vcc_lo, v8, s4
	v_add_co_ci_u32_e32 v33, vcc_lo, s3, v9, vcc_lo
	s_delay_alu instid0(VALU_DEP_2) | instskip(NEXT) | instid1(VALU_DEP_2)
	v_add_co_u32 v34, vcc_lo, v32, s4
	v_add_co_ci_u32_e32 v35, vcc_lo, s3, v33, vcc_lo
	global_store_b128 v[8:9], v[0:3], off
	v_mul_f64 v[0:1], v[36:37], s[0:1]
	v_mul_f64 v[2:3], v[38:39], s[0:1]
	;; [unrolled: 1-line block ×3, first 2 shown]
	global_store_b128 v[32:33], v[0:3], off
	v_add_co_u32 v0, vcc_lo, v34, s4
	v_add_co_ci_u32_e32 v1, vcc_lo, s3, v35, vcc_lo
	global_store_b128 v[34:35], v[4:7], off
	v_add_co_u32 v2, vcc_lo, v0, s4
	v_add_co_ci_u32_e32 v3, vcc_lo, s3, v1, vcc_lo
	s_delay_alu instid0(VALU_DEP_2) | instskip(NEXT) | instid1(VALU_DEP_2)
	v_add_co_u32 v32, vcc_lo, v2, s4
	v_add_co_ci_u32_e32 v33, vcc_lo, s3, v3, vcc_lo
	s_delay_alu instid0(VALU_DEP_2) | instskip(NEXT) | instid1(VALU_DEP_2)
	;; [unrolled: 3-line block ×4, first 2 shown]
	v_add_co_u32 v34, vcc_lo, v6, s4
	v_add_co_ci_u32_e32 v35, vcc_lo, s3, v7, vcc_lo
	global_store_b128 v[0:1], v[8:11], off
	global_store_b128 v[2:3], v[12:15], off
	;; [unrolled: 1-line block ×6, first 2 shown]
.LBB0_2:
	s_nop 0
	s_sendmsg sendmsg(MSG_DEALLOC_VGPRS)
	s_endpgm
	.section	.rodata,"a",@progbits
	.p2align	6, 0x0
	.amdhsa_kernel bluestein_single_back_len289_dim1_dp_op_CI_CI
		.amdhsa_group_segment_fixed_size 32368
		.amdhsa_private_segment_fixed_size 428
		.amdhsa_kernarg_size 104
		.amdhsa_user_sgpr_count 15
		.amdhsa_user_sgpr_dispatch_ptr 0
		.amdhsa_user_sgpr_queue_ptr 0
		.amdhsa_user_sgpr_kernarg_segment_ptr 1
		.amdhsa_user_sgpr_dispatch_id 0
		.amdhsa_user_sgpr_private_segment_size 0
		.amdhsa_wavefront_size32 1
		.amdhsa_uses_dynamic_stack 0
		.amdhsa_enable_private_segment 1
		.amdhsa_system_sgpr_workgroup_id_x 1
		.amdhsa_system_sgpr_workgroup_id_y 0
		.amdhsa_system_sgpr_workgroup_id_z 0
		.amdhsa_system_sgpr_workgroup_info 0
		.amdhsa_system_vgpr_workitem_id 0
		.amdhsa_next_free_vgpr 256
		.amdhsa_next_free_sgpr 58
		.amdhsa_reserve_vcc 1
		.amdhsa_float_round_mode_32 0
		.amdhsa_float_round_mode_16_64 0
		.amdhsa_float_denorm_mode_32 3
		.amdhsa_float_denorm_mode_16_64 3
		.amdhsa_dx10_clamp 1
		.amdhsa_ieee_mode 1
		.amdhsa_fp16_overflow 0
		.amdhsa_workgroup_processor_mode 1
		.amdhsa_memory_ordered 1
		.amdhsa_forward_progress 0
		.amdhsa_shared_vgpr_count 0
		.amdhsa_exception_fp_ieee_invalid_op 0
		.amdhsa_exception_fp_denorm_src 0
		.amdhsa_exception_fp_ieee_div_zero 0
		.amdhsa_exception_fp_ieee_overflow 0
		.amdhsa_exception_fp_ieee_underflow 0
		.amdhsa_exception_fp_ieee_inexact 0
		.amdhsa_exception_int_div_zero 0
	.end_amdhsa_kernel
	.text
.Lfunc_end0:
	.size	bluestein_single_back_len289_dim1_dp_op_CI_CI, .Lfunc_end0-bluestein_single_back_len289_dim1_dp_op_CI_CI
                                        ; -- End function
	.section	.AMDGPU.csdata,"",@progbits
; Kernel info:
; codeLenInByte = 33044
; NumSgprs: 60
; NumVgprs: 256
; ScratchSize: 428
; MemoryBound: 0
; FloatMode: 240
; IeeeMode: 1
; LDSByteSize: 32368 bytes/workgroup (compile time only)
; SGPRBlocks: 7
; VGPRBlocks: 31
; NumSGPRsForWavesPerEU: 60
; NumVGPRsForWavesPerEU: 256
; Occupancy: 4
; WaveLimiterHint : 1
; COMPUTE_PGM_RSRC2:SCRATCH_EN: 1
; COMPUTE_PGM_RSRC2:USER_SGPR: 15
; COMPUTE_PGM_RSRC2:TRAP_HANDLER: 0
; COMPUTE_PGM_RSRC2:TGID_X_EN: 1
; COMPUTE_PGM_RSRC2:TGID_Y_EN: 0
; COMPUTE_PGM_RSRC2:TGID_Z_EN: 0
; COMPUTE_PGM_RSRC2:TIDIG_COMP_CNT: 0
	.text
	.p2alignl 7, 3214868480
	.fill 96, 4, 3214868480
	.type	__hip_cuid_350e9a78809d8351,@object ; @__hip_cuid_350e9a78809d8351
	.section	.bss,"aw",@nobits
	.globl	__hip_cuid_350e9a78809d8351
__hip_cuid_350e9a78809d8351:
	.byte	0                               ; 0x0
	.size	__hip_cuid_350e9a78809d8351, 1

	.ident	"AMD clang version 19.0.0git (https://github.com/RadeonOpenCompute/llvm-project roc-6.4.0 25133 c7fe45cf4b819c5991fe208aaa96edf142730f1d)"
	.section	".note.GNU-stack","",@progbits
	.addrsig
	.addrsig_sym __hip_cuid_350e9a78809d8351
	.amdgpu_metadata
---
amdhsa.kernels:
  - .args:
      - .actual_access:  read_only
        .address_space:  global
        .offset:         0
        .size:           8
        .value_kind:     global_buffer
      - .actual_access:  read_only
        .address_space:  global
        .offset:         8
        .size:           8
        .value_kind:     global_buffer
      - .actual_access:  read_only
        .address_space:  global
        .offset:         16
        .size:           8
        .value_kind:     global_buffer
      - .actual_access:  read_only
        .address_space:  global
        .offset:         24
        .size:           8
        .value_kind:     global_buffer
      - .actual_access:  read_only
        .address_space:  global
        .offset:         32
        .size:           8
        .value_kind:     global_buffer
      - .offset:         40
        .size:           8
        .value_kind:     by_value
      - .address_space:  global
        .offset:         48
        .size:           8
        .value_kind:     global_buffer
      - .address_space:  global
        .offset:         56
        .size:           8
        .value_kind:     global_buffer
      - .address_space:  global
        .offset:         64
        .size:           8
        .value_kind:     global_buffer
      - .address_space:  global
        .offset:         72
        .size:           8
        .value_kind:     global_buffer
      - .offset:         80
        .size:           4
        .value_kind:     by_value
      - .address_space:  global
        .offset:         88
        .size:           8
        .value_kind:     global_buffer
      - .address_space:  global
        .offset:         96
        .size:           8
        .value_kind:     global_buffer
    .group_segment_fixed_size: 32368
    .kernarg_segment_align: 8
    .kernarg_segment_size: 104
    .language:       OpenCL C
    .language_version:
      - 2
      - 0
    .max_flat_workgroup_size: 119
    .name:           bluestein_single_back_len289_dim1_dp_op_CI_CI
    .private_segment_fixed_size: 428
    .sgpr_count:     60
    .sgpr_spill_count: 0
    .symbol:         bluestein_single_back_len289_dim1_dp_op_CI_CI.kd
    .uniform_work_group_size: 1
    .uses_dynamic_stack: false
    .vgpr_count:     256
    .vgpr_spill_count: 106
    .wavefront_size: 32
    .workgroup_processor_mode: 1
amdhsa.target:   amdgcn-amd-amdhsa--gfx1100
amdhsa.version:
  - 1
  - 2
...

	.end_amdgpu_metadata
